;; amdgpu-corpus repo=ROCm/aiter kind=harvested arch=n/a opt=n/a

/root/src/amdgpu-assembly/repos/ROCm__aiter/hsa/gfx942/fmoe_2stages/fmoe_stage1_bf16_pertokenFp8_blockscale_g1u1_48x512_pf2.co:	file format elf64-amdgpu

Disassembly of section .text:

0000000000002a00 <_ZN5aiter55fmoe_stage1_bf16_pertokenFp8_blockscale_g1u1_48x512_pf2E>:
	s_and_b32 s1, s1, 0xffff                                   // 000000002A00: 8601FF01 0000FFFF
	s_load_dwordx2 s[8:9], s[0:1], 0x0                         // 000000002A08: C0060200 00000000
	s_load_dwordx2 s[20:21], s[0:1], 0x10                      // 000000002A10: C0060500 00000010
	s_load_dwordx2 s[24:25], s[0:1], 0x20                      // 000000002A18: C0060600 00000020
	s_load_dwordx2 s[48:49], s[0:1], 0x30                      // 000000002A20: C0060C00 00000030
	s_load_dwordx2 s[28:29], s[0:1], 0x40                      // 000000002A28: C0060700 00000040
	s_load_dwordx2 s[32:33], s[0:1], 0x50                      // 000000002A30: C0060800 00000050
	s_load_dwordx2 s[36:37], s[0:1], 0x60                      // 000000002A38: C0060900 00000060
	s_load_dwordx2 s[12:13], s[0:1], 0x70                      // 000000002A40: C0060300 00000070
	s_load_dwordx2 s[44:45], s[0:1], 0x80                      // 000000002A48: C0060B00 00000080
	s_mov_b32 s89, 0                                           // 000000002A50: BED90080
	s_load_dword s64, s[0:1], 0x90                             // 000000002A54: C0021000 00000090
	s_load_dword s65, s[0:1], 0xa0                             // 000000002A5C: C0021040 000000A0
	s_load_dword s66, s[0:1], 0xb0                             // 000000002A64: C0021080 000000B0
	s_load_dword s67, s[0:1], 0xc0                             // 000000002A6C: C00210C0 000000C0
	s_load_dword s68, s[0:1], 0xd0                             // 000000002A74: C0021100 000000D0
	s_load_dword s69, s[0:1], 0xe0                             // 000000002A7C: C0021140 000000E0
	s_load_dword s71, s[0:1], 0xf0                             // 000000002A84: C00211C0 000000F0
	s_load_dword s72, s[0:1], 0x100                            // 000000002A8C: C0021200 00000100
	s_load_dword s74, s[0:1], 0x110                            // 000000002A94: C0021280 00000110
	s_load_dword s76, s[0:1], 0x120                            // 000000002A9C: C0021300 00000120
	s_load_dword s56, s[0:1], 0x130                            // 000000002AA4: C0020E00 00000130
	s_load_dword s88, s[0:1], 0x140                            // 000000002AAC: C0021600 00000140
	s_load_dword s89, s[0:1], 0x150                            // 000000002AB4: C0021640 00000150
	v_lshrrev_b32_e32 v1, 10, v0                               // 000000002ABC: 2002008A
	v_lshrrev_b32_e32 v2, 10, v1                               // 000000002AC0: 2004028A
	v_and_b32_e32 v2, 0x3ff, v2                                // 000000002AC4: 260404FF 000003FF
	v_and_b32_e32 v1, 0x3ff, v1                                // 000000002ACC: 260202FF 000003FF
	v_and_b32_e32 v0, 0x3ff, v0                                // 000000002AD4: 260000FF 000003FF
	v_lshrrev_b32_e32 v3, 6, v0                                // 000000002ADC: 20060086
	v_and_b32_e32 v0, 63, v0                                   // 000000002AE0: 260000BF
	s_mov_b32 s2, s2                                           // 000000002AE4: BE820002
	s_mov_b32 s3, s3                                           // 000000002AE8: BE830003
	s_mov_b32 s4, s4                                           // 000000002AEC: BE840004
	v_readfirstlane_b32 s7, v3                                 // 000000002AF0: 7E0E0503
	s_waitcnt lgkmcnt(0)                                       // 000000002AF4: BF8CC07F
	s_and_b32 s49, s49, 0xffff                                 // 000000002AF8: 8631FF31 0000FFFF
	s_load_dword s48, s[48:49], 0x0                            // 000000002B00: C0020C18 00000000
	s_and_b32 s45, s45, 0xffff                                 // 000000002B08: 862DFF2D 0000FFFF
	s_and_b32 s9, s9, 0xffff                                   // 000000002B10: 8609FF09 0000FFFF
	s_mul_i32 s60, s66, s68                                    // 000000002B18: 923C4442
	s_mul_i32 s61, s66, 4                                      // 000000002B1C: 923D8442
	s_mov_b32 s22, s60                                         // 000000002B20: BE96003C
	s_mov_b32 s26, -16                                         // 000000002B24: BE9A00D0
	s_mov_b32 s30, s61                                         // 000000002B28: BE9E003D
	s_mov_b32 s14, 0xc0                                        // 000000002B2C: BE8E00FF 000000C0
	s_mov_b32 s38, -16                                         // 000000002B34: BEA600D0
	s_mov_b32 s10, -16                                         // 000000002B38: BE8A00D0
	s_lshr_b32 s60, s64, 7                                     // 000000002B3C: 8F3C8740
	s_mul_i32 s61, s60, 4                                      // 000000002B40: 923D843C
	s_lshr_b32 s60, s65, 7                                     // 000000002B44: 8F3C8741
	s_add_u32 s60, s60, 4                                      // 000000002B48: 803C843C
	s_mul_i32 s60, s60, s61                                    // 000000002B4C: 923C3D3C
	s_mov_b32 s34, s60                                         // 000000002B50: BEA2003C
	s_mov_b32 s23, 0x20000                                     // 000000002B54: BE9700FF 00020000
	s_mov_b32 s27, 0x20000                                     // 000000002B5C: BE9B00FF 00020000
	s_mov_b32 s31, 0x20000                                     // 000000002B64: BE9F00FF 00020000
	s_mov_b32 s35, 0x20000                                     // 000000002B6C: BEA300FF 00020000
	s_mov_b32 s15, 0x20000                                     // 000000002B74: BE8F00FF 00020000
	s_mov_b32 s39, 0x20000                                     // 000000002B7C: BEA700FF 00020000
	s_mov_b32 s11, 0x20000                                     // 000000002B84: BE8B00FF 00020000
	s_and_b32 s21, s21, 0xffff                                 // 000000002B8C: 8615FF15 0000FFFF
	s_and_b32 s25, s25, 0xffff                                 // 000000002B94: 8619FF19 0000FFFF
	s_and_b32 s29, s29, 0xffff                                 // 000000002B9C: 861DFF1D 0000FFFF
	s_and_b32 s33, s33, 0xffff                                 // 000000002BA4: 8621FF21 0000FFFF
	s_and_b32 s13, s13, 0xffff                                 // 000000002BAC: 860DFF0D 0000FFFF
	s_and_b32 s37, s37, 0xffff                                 // 000000002BB4: 8625FF25 0000FFFF
	s_or_b32 s21, s21, 0x40000                                 // 000000002BBC: 8715FF15 00040000
	s_or_b32 s25, s25, 0x40000                                 // 000000002BC4: 8719FF19 00040000
	s_or_b32 s29, s29, 0x40000                                 // 000000002BCC: 871DFF1D 00040000
	s_or_b32 s33, s33, 0x40000                                 // 000000002BD4: 8721FF21 00040000
	s_or_b32 s13, s13, 0x40000                                 // 000000002BDC: 870DFF0D 00040000
	s_or_b32 s37, s37, 0x40000                                 // 000000002BE4: 8725FF25 00040000
	v_accvgpr_write_b32 a175, 0                                // 000000002BEC: D3D940AF 18000080
	v_mov_b32_e32 v247, 0                                      // 000000002BF4: 7FEE0280
	s_waitcnt lgkmcnt(0)                                       // 000000002BF8: BF8CC07F
	s_mul_i32 s60, s3, 48                                      // 000000002BFC: 923CB003
	s_cmp_lt_i32 s60, s48                                      // 000000002C00: BF04303C
	s_cbranch_scc0 label_37C6                                  // 000000002C04: BF843741
	s_mov_b32 s80, 0                                           // 000000002C08: BED00080
	s_lshr_b32 s81, s64, s88                                   // 000000002C0C: 8F515840
	s_mul_i32 s60, s3, 4                                       // 000000002C10: 923C8403
	s_add_u32 s44, s60, s44                                    // 000000002C14: 802C2C3C
	s_addc_u32 s45, 0, s45                                     // 000000002C18: 822D2D80
	s_load_dword s5, s[44:45], 0x0                             // 000000002C1C: C0020156 00000000
	s_mul_i32 s60, s3, 48                                      // 000000002C24: 923CB003
	s_mul_i32 s60, 4, s60                                      // 000000002C28: 923C3C84
	s_add_u32 s12, s60, s12                                    // 000000002C2C: 800C0C3C
	s_addc_u32 s13, 0, s13                                     // 000000002C30: 820D0D80
	v_and_b32_e32 v4, 15, v0                                   // 000000002C34: 2608008F
	v_lshlrev_b32_e32 v4, 2, v4                                // 000000002C38: 24080882
	buffer_load_dword v28, v4, s[12:15], 0 offen               // 000000002C3C: E0501000 80031C04
	v_add_u32_e32 v4, 64, v4                                   // 000000002C44: 680808C0
	buffer_load_dword v29, v4, s[12:15], 0 offen               // 000000002C48: E0501000 80031D04
	v_add_u32_e32 v4, 64, v4                                   // 000000002C50: 680808C0
	buffer_load_dword v30, v4, s[12:15], 0 offen               // 000000002C54: E0501000 80031E04
	v_add_u32_e32 v4, 64, v4                                   // 000000002C5C: 680808C0
	s_mul_i32 s60, 4, s7                                       // 000000002C60: 923C0784
	v_lshlrev_b32_e32 v4, 4, v0                                // 000000002C64: 24080084
	v_add_u32_e32 v4, s60, v4                                  // 000000002C68: 6808083C
	buffer_load_dword v3, v4, s[12:15], 0 offen                // 000000002C6C: E0501000 80030304
	v_mov_b32_e32 v56, 0                                       // 000000002C74: 7E700280
	v_mov_b32_e32 v152, 0                                      // 000000002C78: 7F300280
	v_mov_b32_e32 v57, 0                                       // 000000002C7C: 7E720280
	v_mov_b32_e32 v153, 0                                      // 000000002C80: 7F320280
	v_mov_b32_e32 v58, 0                                       // 000000002C84: 7E740280
	v_mov_b32_e32 v154, 0                                      // 000000002C88: 7F340280
	v_mov_b32_e32 v59, 0                                       // 000000002C8C: 7E760280
	v_mov_b32_e32 v155, 0                                      // 000000002C90: 7F360280
	v_mov_b32_e32 v60, 0                                       // 000000002C94: 7E780280
	v_mov_b32_e32 v156, 0                                      // 000000002C98: 7F380280
	v_mov_b32_e32 v61, 0                                       // 000000002C9C: 7E7A0280
	v_mov_b32_e32 v157, 0                                      // 000000002CA0: 7F3A0280
	v_mov_b32_e32 v62, 0                                       // 000000002CA4: 7E7C0280
	v_mov_b32_e32 v158, 0                                      // 000000002CA8: 7F3C0280
	v_mov_b32_e32 v63, 0                                       // 000000002CAC: 7E7E0280
	v_mov_b32_e32 v159, 0                                      // 000000002CB0: 7F3E0280
	v_mov_b32_e32 v64, 0                                       // 000000002CB4: 7E800280
	v_mov_b32_e32 v160, 0                                      // 000000002CB8: 7F400280
	v_mov_b32_e32 v65, 0                                       // 000000002CBC: 7E820280
	v_mov_b32_e32 v161, 0                                      // 000000002CC0: 7F420280
	v_mov_b32_e32 v66, 0                                       // 000000002CC4: 7E840280
	v_mov_b32_e32 v162, 0                                      // 000000002CC8: 7F440280
	v_mov_b32_e32 v67, 0                                       // 000000002CCC: 7E860280
	v_mov_b32_e32 v163, 0                                      // 000000002CD0: 7F460280
	v_mov_b32_e32 v68, 0                                       // 000000002CD4: 7E880280
	v_mov_b32_e32 v164, 0                                      // 000000002CD8: 7F480280
	v_mov_b32_e32 v69, 0                                       // 000000002CDC: 7E8A0280
	v_mov_b32_e32 v165, 0                                      // 000000002CE0: 7F4A0280
	v_mov_b32_e32 v70, 0                                       // 000000002CE4: 7E8C0280
	v_mov_b32_e32 v166, 0                                      // 000000002CE8: 7F4C0280
	v_mov_b32_e32 v71, 0                                       // 000000002CEC: 7E8E0280
	v_mov_b32_e32 v167, 0                                      // 000000002CF0: 7F4E0280
	v_mov_b32_e32 v72, 0                                       // 000000002CF4: 7E900280
	v_mov_b32_e32 v168, 0                                      // 000000002CF8: 7F500280
	v_mov_b32_e32 v73, 0                                       // 000000002CFC: 7E920280
	v_mov_b32_e32 v169, 0                                      // 000000002D00: 7F520280
	v_mov_b32_e32 v74, 0                                       // 000000002D04: 7E940280
	v_mov_b32_e32 v170, 0                                      // 000000002D08: 7F540280
	v_mov_b32_e32 v75, 0                                       // 000000002D0C: 7E960280
	v_mov_b32_e32 v171, 0                                      // 000000002D10: 7F560280
	v_mov_b32_e32 v76, 0                                       // 000000002D14: 7E980280
	v_mov_b32_e32 v172, 0                                      // 000000002D18: 7F580280
	v_mov_b32_e32 v77, 0                                       // 000000002D1C: 7E9A0280
	v_mov_b32_e32 v173, 0                                      // 000000002D20: 7F5A0280
	v_mov_b32_e32 v78, 0                                       // 000000002D24: 7E9C0280
	v_mov_b32_e32 v174, 0                                      // 000000002D28: 7F5C0280
	v_mov_b32_e32 v79, 0                                       // 000000002D2C: 7E9E0280
	v_mov_b32_e32 v175, 0                                      // 000000002D30: 7F5E0280
	v_mov_b32_e32 v80, 0                                       // 000000002D34: 7EA00280
	v_mov_b32_e32 v176, 0                                      // 000000002D38: 7F600280
	v_mov_b32_e32 v81, 0                                       // 000000002D3C: 7EA20280
	v_mov_b32_e32 v177, 0                                      // 000000002D40: 7F620280
	v_mov_b32_e32 v82, 0                                       // 000000002D44: 7EA40280
	v_mov_b32_e32 v178, 0                                      // 000000002D48: 7F640280
	v_mov_b32_e32 v83, 0                                       // 000000002D4C: 7EA60280
	v_mov_b32_e32 v179, 0                                      // 000000002D50: 7F660280
	v_mov_b32_e32 v84, 0                                       // 000000002D54: 7EA80280
	v_mov_b32_e32 v180, 0                                      // 000000002D58: 7F680280
	v_mov_b32_e32 v85, 0                                       // 000000002D5C: 7EAA0280
	v_mov_b32_e32 v181, 0                                      // 000000002D60: 7F6A0280
	v_mov_b32_e32 v86, 0                                       // 000000002D64: 7EAC0280
	v_mov_b32_e32 v182, 0                                      // 000000002D68: 7F6C0280
	v_mov_b32_e32 v87, 0                                       // 000000002D6C: 7EAE0280
	v_mov_b32_e32 v183, 0                                      // 000000002D70: 7F6E0280
	v_mov_b32_e32 v88, 0                                       // 000000002D74: 7EB00280
	v_mov_b32_e32 v184, 0                                      // 000000002D78: 7F700280
	v_mov_b32_e32 v89, 0                                       // 000000002D7C: 7EB20280
	v_mov_b32_e32 v185, 0                                      // 000000002D80: 7F720280
	v_mov_b32_e32 v90, 0                                       // 000000002D84: 7EB40280
	v_mov_b32_e32 v186, 0                                      // 000000002D88: 7F740280
	v_mov_b32_e32 v91, 0                                       // 000000002D8C: 7EB60280
	v_mov_b32_e32 v187, 0                                      // 000000002D90: 7F760280
	v_mov_b32_e32 v92, 0                                       // 000000002D94: 7EB80280
	v_mov_b32_e32 v188, 0                                      // 000000002D98: 7F780280
	v_mov_b32_e32 v93, 0                                       // 000000002D9C: 7EBA0280
	v_mov_b32_e32 v189, 0                                      // 000000002DA0: 7F7A0280
	v_mov_b32_e32 v94, 0                                       // 000000002DA4: 7EBC0280
	v_mov_b32_e32 v190, 0                                      // 000000002DA8: 7F7C0280
	v_mov_b32_e32 v95, 0                                       // 000000002DAC: 7EBE0280
	v_mov_b32_e32 v191, 0                                      // 000000002DB0: 7F7E0280
	v_mov_b32_e32 v96, 0                                       // 000000002DB4: 7EC00280
	v_mov_b32_e32 v192, 0                                      // 000000002DB8: 7F800280
	v_mov_b32_e32 v97, 0                                       // 000000002DBC: 7EC20280
	v_mov_b32_e32 v193, 0                                      // 000000002DC0: 7F820280
	v_mov_b32_e32 v98, 0                                       // 000000002DC4: 7EC40280
	v_mov_b32_e32 v194, 0                                      // 000000002DC8: 7F840280
	v_mov_b32_e32 v99, 0                                       // 000000002DCC: 7EC60280
	v_mov_b32_e32 v195, 0                                      // 000000002DD0: 7F860280
	v_mov_b32_e32 v100, 0                                      // 000000002DD4: 7EC80280
	v_mov_b32_e32 v196, 0                                      // 000000002DD8: 7F880280
	v_mov_b32_e32 v101, 0                                      // 000000002DDC: 7ECA0280
	v_mov_b32_e32 v197, 0                                      // 000000002DE0: 7F8A0280
	v_mov_b32_e32 v102, 0                                      // 000000002DE4: 7ECC0280
	v_mov_b32_e32 v198, 0                                      // 000000002DE8: 7F8C0280
	v_mov_b32_e32 v103, 0                                      // 000000002DEC: 7ECE0280
	v_mov_b32_e32 v199, 0                                      // 000000002DF0: 7F8E0280
	v_mov_b32_e32 v104, 0                                      // 000000002DF4: 7ED00280
	v_mov_b32_e32 v200, 0                                      // 000000002DF8: 7F900280
	v_mov_b32_e32 v105, 0                                      // 000000002DFC: 7ED20280
	v_mov_b32_e32 v201, 0                                      // 000000002E00: 7F920280
	v_mov_b32_e32 v106, 0                                      // 000000002E04: 7ED40280
	v_mov_b32_e32 v202, 0                                      // 000000002E08: 7F940280
	v_mov_b32_e32 v107, 0                                      // 000000002E0C: 7ED60280
	v_mov_b32_e32 v203, 0                                      // 000000002E10: 7F960280
	v_mov_b32_e32 v108, 0                                      // 000000002E14: 7ED80280
	v_mov_b32_e32 v204, 0                                      // 000000002E18: 7F980280
	v_mov_b32_e32 v109, 0                                      // 000000002E1C: 7EDA0280
	v_mov_b32_e32 v205, 0                                      // 000000002E20: 7F9A0280
	v_mov_b32_e32 v110, 0                                      // 000000002E24: 7EDC0280
	v_mov_b32_e32 v206, 0                                      // 000000002E28: 7F9C0280
	v_mov_b32_e32 v111, 0                                      // 000000002E2C: 7EDE0280
	v_mov_b32_e32 v207, 0                                      // 000000002E30: 7F9E0280
	v_mov_b32_e32 v112, 0                                      // 000000002E34: 7EE00280
	v_mov_b32_e32 v208, 0                                      // 000000002E38: 7FA00280
	v_mov_b32_e32 v113, 0                                      // 000000002E3C: 7EE20280
	v_mov_b32_e32 v209, 0                                      // 000000002E40: 7FA20280
	v_mov_b32_e32 v114, 0                                      // 000000002E44: 7EE40280
	v_mov_b32_e32 v210, 0                                      // 000000002E48: 7FA40280
	v_mov_b32_e32 v115, 0                                      // 000000002E4C: 7EE60280
	v_mov_b32_e32 v211, 0                                      // 000000002E50: 7FA60280
	v_mov_b32_e32 v116, 0                                      // 000000002E54: 7EE80280
	v_mov_b32_e32 v212, 0                                      // 000000002E58: 7FA80280
	v_mov_b32_e32 v117, 0                                      // 000000002E5C: 7EEA0280
	v_mov_b32_e32 v213, 0                                      // 000000002E60: 7FAA0280
	v_mov_b32_e32 v118, 0                                      // 000000002E64: 7EEC0280
	v_mov_b32_e32 v214, 0                                      // 000000002E68: 7FAC0280
	v_mov_b32_e32 v119, 0                                      // 000000002E6C: 7EEE0280
	v_mov_b32_e32 v215, 0                                      // 000000002E70: 7FAE0280
	v_mov_b32_e32 v120, 0                                      // 000000002E74: 7EF00280
	v_mov_b32_e32 v216, 0                                      // 000000002E78: 7FB00280
	v_mov_b32_e32 v121, 0                                      // 000000002E7C: 7EF20280
	v_mov_b32_e32 v217, 0                                      // 000000002E80: 7FB20280
	v_mov_b32_e32 v122, 0                                      // 000000002E84: 7EF40280
	v_mov_b32_e32 v218, 0                                      // 000000002E88: 7FB40280
	v_mov_b32_e32 v123, 0                                      // 000000002E8C: 7EF60280
	v_mov_b32_e32 v219, 0                                      // 000000002E90: 7FB60280
	v_mov_b32_e32 v124, 0                                      // 000000002E94: 7EF80280
	v_mov_b32_e32 v220, 0                                      // 000000002E98: 7FB80280
	v_mov_b32_e32 v125, 0                                      // 000000002E9C: 7EFA0280
	v_mov_b32_e32 v221, 0                                      // 000000002EA0: 7FBA0280
	v_mov_b32_e32 v126, 0                                      // 000000002EA4: 7EFC0280
	v_mov_b32_e32 v222, 0                                      // 000000002EA8: 7FBC0280
	v_mov_b32_e32 v127, 0                                      // 000000002EAC: 7EFE0280
	v_mov_b32_e32 v223, 0                                      // 000000002EB0: 7FBE0280
	v_mov_b32_e32 v128, 0                                      // 000000002EB4: 7F000280
	v_mov_b32_e32 v224, 0                                      // 000000002EB8: 7FC00280
	v_mov_b32_e32 v129, 0                                      // 000000002EBC: 7F020280
	v_mov_b32_e32 v225, 0                                      // 000000002EC0: 7FC20280
	v_mov_b32_e32 v130, 0                                      // 000000002EC4: 7F040280
	v_mov_b32_e32 v226, 0                                      // 000000002EC8: 7FC40280
	v_mov_b32_e32 v131, 0                                      // 000000002ECC: 7F060280
	v_mov_b32_e32 v227, 0                                      // 000000002ED0: 7FC60280
	v_mov_b32_e32 v132, 0                                      // 000000002ED4: 7F080280
	v_mov_b32_e32 v228, 0                                      // 000000002ED8: 7FC80280
	v_mov_b32_e32 v133, 0                                      // 000000002EDC: 7F0A0280
	v_mov_b32_e32 v229, 0                                      // 000000002EE0: 7FCA0280
	v_mov_b32_e32 v134, 0                                      // 000000002EE4: 7F0C0280
	v_mov_b32_e32 v230, 0                                      // 000000002EE8: 7FCC0280
	v_mov_b32_e32 v135, 0                                      // 000000002EEC: 7F0E0280
	v_mov_b32_e32 v231, 0                                      // 000000002EF0: 7FCE0280
	v_mov_b32_e32 v136, 0                                      // 000000002EF4: 7F100280
	v_mov_b32_e32 v232, 0                                      // 000000002EF8: 7FD00280
	v_mov_b32_e32 v137, 0                                      // 000000002EFC: 7F120280
	v_mov_b32_e32 v233, 0                                      // 000000002F00: 7FD20280
	v_mov_b32_e32 v138, 0                                      // 000000002F04: 7F140280
	v_mov_b32_e32 v234, 0                                      // 000000002F08: 7FD40280
	v_mov_b32_e32 v139, 0                                      // 000000002F0C: 7F160280
	v_mov_b32_e32 v235, 0                                      // 000000002F10: 7FD60280
	v_mov_b32_e32 v140, 0                                      // 000000002F14: 7F180280
	v_mov_b32_e32 v236, 0                                      // 000000002F18: 7FD80280
	v_mov_b32_e32 v141, 0                                      // 000000002F1C: 7F1A0280
	v_mov_b32_e32 v237, 0                                      // 000000002F20: 7FDA0280
	v_mov_b32_e32 v142, 0                                      // 000000002F24: 7F1C0280
	v_mov_b32_e32 v238, 0                                      // 000000002F28: 7FDC0280
	v_mov_b32_e32 v143, 0                                      // 000000002F2C: 7F1E0280
	v_mov_b32_e32 v239, 0                                      // 000000002F30: 7FDE0280
	v_mov_b32_e32 v144, 0                                      // 000000002F34: 7F200280
	v_mov_b32_e32 v240, 0                                      // 000000002F38: 7FE00280
	v_mov_b32_e32 v145, 0                                      // 000000002F3C: 7F220280
	v_mov_b32_e32 v241, 0                                      // 000000002F40: 7FE20280
	v_mov_b32_e32 v146, 0                                      // 000000002F44: 7F240280
	v_mov_b32_e32 v242, 0                                      // 000000002F48: 7FE40280
	v_mov_b32_e32 v147, 0                                      // 000000002F4C: 7F260280
	v_mov_b32_e32 v243, 0                                      // 000000002F50: 7FE60280
	v_mov_b32_e32 v148, 0                                      // 000000002F54: 7F280280
	v_mov_b32_e32 v244, 0                                      // 000000002F58: 7FE80280
	v_mov_b32_e32 v149, 0                                      // 000000002F5C: 7F2A0280
	v_mov_b32_e32 v245, 0                                      // 000000002F60: 7FEA0280
	v_mov_b32_e32 v150, 0                                      // 000000002F64: 7F2C0280
	v_mov_b32_e32 v246, 0                                      // 000000002F68: 7FEC0280
	v_mov_b32_e32 v151, 0                                      // 000000002F6C: 7F2E0280
	v_mov_b32_e32 v247, 0                                      // 000000002F70: 7FEE0280
	s_mul_i32 s60, s2, 0x200                                   // 000000002F74: 923CFF02 00000200
	s_cmp_eq_u32 s88, 0                                        // 000000002F7C: BF068058
	s_cselect_b32 s61, 1, 4                                    // 000000002F80: 853D8481
	s_mul_i32 s60, s60, s61                                    // 000000002F84: 923C3D3C
	s_mov_b32 s90, s8                                          // 000000002F88: BEDA0008
	s_mov_b32 s91, s9                                          // 000000002F8C: BEDB0009
	s_add_u32 s8, s60, s8                                      // 000000002F90: 8008083C
	s_addc_u32 s9, 0, s9                                       // 000000002F94: 82090980
	v_lshrrev_b32_e32 v4, 4, v0                                // 000000002F98: 20080084
	v_mul_lo_u32 v20, 34, v4                                   // 000000002F9C: D2850014 000208A2
	v_and_b32_e32 v4, 15, v0                                   // 000000002FA4: 2608008F
	v_mul_lo_u32 v5, 2, v4                                     // 000000002FA8: D2850005 00020882
	v_add_u32_e32 v20, v5, v20                                 // 000000002FB0: 68282905
	s_mul_i32 s60, s7, 0x88                                    // 000000002FB4: 923CFF07 00000088
	v_add_u32_e32 v20, s60, v20                                // 000000002FBC: 6828283C
	v_lshlrev_b32_e32 v20, 2, v20                              // 000000002FC0: 24282882
	v_and_b32_e32 v4, 31, v0                                   // 000000002FC4: 2608009F
	v_lshrrev_b32_e32 v4, 1, v4                                // 000000002FC8: 20080881
	v_mul_lo_u32 v21, 34, v4                                   // 000000002FCC: D2850015 000208A2
	v_lshrrev_b32_e32 v4, 5, v0                                // 000000002FD4: 20080085
	v_mul_lo_u32 v4, 8, v4                                     // 000000002FD8: D2850004 00020888
	v_add_u32_e32 v21, v21, v4                                 // 000000002FE0: 682A0915
	v_and_b32_e32 v5, 1, v0                                    // 000000002FE4: 260A0081
	v_add_u32_e32 v21, v5, v21                                 // 000000002FE8: 682A2B05
	s_mul_i32 s60, s7, 2                                       // 000000002FEC: 923C8207
	v_add_u32_e32 v21, s60, v21                                // 000000002FF0: 682A2A3C
	v_lshlrev_b32_e32 v21, 2, v21                              // 000000002FF4: 242A2A82
	s_mul_i32 s60, s7, 0x620                                   // 000000002FF8: 923CFF07 00000620
	s_add_u32 s48, 0, s60                                      // 000000003000: 80303C80
	s_add_u32 s49, 0x1880, s48                                 // 000000003004: 803130FF 00001880
	v_lshrrev_b32_e32 v4, 4, v0                                // 00000000300C: 20080084
	v_lshlrev_b32_e32 v5, 2, v4                                // 000000003010: 240A0882
	v_and_b32_e32 v4, 15, v0                                   // 000000003014: 2608008F
	v_lshrrev_b32_e32 v6, 2, v4                                // 000000003018: 200C0882
	v_lshlrev_b32_e32 v6, 5, v6                                // 00000000301C: 240C0C85
	v_add_u32_e32 v5, v6, v5                                   // 000000003020: 680A0B06
	v_and_b32_e32 v4, 3, v0                                    // 000000003024: 26080083
	v_mul_u32_u24_e32 v6, 0x188, v4                            // 000000003028: 100C08FF 00000188
	v_add_u32_e32 v5, v6, v5                                   // 000000003030: 680A0B06
	v_lshlrev_b32_e32 v2, 2, v5                                // 000000003034: 24040A82
	s_waitcnt lgkmcnt(0)                                       // 000000003038: BF8CC07F
	s_mul_i32 s60, s2, 0x200                                   // 00000000303C: 923CFF02 00000200
	s_mul_i32 s60, s60, s69                                    // 000000003044: 923C453C
	s_mul_i32 s61, s5, s72                                     // 000000003048: 923D4805
	s_add_u32 s60, s61, s60                                    // 00000000304C: 803C3C3D
	s_add_u32 s24, s60, s24                                    // 000000003050: 8018183C
	s_addc_u32 s25, 0, s25                                     // 000000003054: 82191980
	s_lshr_b32 s60, s64, s88                                   // 000000003058: 8F3C5840
	s_mul_i32 s60, s4, s60                                     // 00000000305C: 923C3C04
	s_lshr_b32 s60, s60, 7                                     // 000000003060: 8F3C873C
	s_mul_i32 s60, s60, 0x800                                  // 000000003064: 923CFF3C 00000800
	s_add_u32 s24, s60, s24                                    // 00000000306C: 8018183C
	s_addc_u32 s25, 0, s25                                     // 000000003070: 82191980
	s_lshr_b32 s60, s69, s88                                   // 000000003074: 8F3C5845
	s_mul_i32 s60, s4, s60                                     // 000000003078: 923C3C04
	s_add_u32 s20, s60, s20                                    // 00000000307C: 8014143C
	s_addc_u32 s21, 0, s21                                     // 000000003080: 82151580
	s_mul_i32 s60, s7, 16                                      // 000000003084: 923C9007
	s_mul_i32 s60, s60, s69                                    // 000000003088: 923C453C
	v_lshlrev_b32_e32 v46, 4, v0                               // 00000000308C: 245C0084
	v_add_u32_e32 v46, s60, v46                                // 000000003090: 685C5C3C
	s_mul_i32 s60, 64, s69                                     // 000000003094: 923C45C0
	v_add_u32_e32 v47, s60, v46                                // 000000003098: 685E5C3C
	v_add_u32_e32 v48, s60, v47                                // 00000000309C: 68605E3C
	v_add_u32_e32 v49, s60, v48                                // 0000000030A0: 6862603C
	v_add_u32_e32 v50, s60, v49                                // 0000000030A4: 6864623C
	v_add_u32_e32 v51, s60, v50                                // 0000000030A8: 6866643C
	v_add_u32_e32 v52, s60, v51                                // 0000000030AC: 6868663C
	v_add_u32_e32 v53, s60, v52                                // 0000000030B0: 686A683C
	s_mov_b32 s84, s24                                         // 0000000030B4: BED40018
	s_mov_b32 s85, s25                                         // 0000000030B8: BED50019
	s_mov_b32 s86, s26                                         // 0000000030BC: BED6001A
	s_mov_b32 s87, s27                                         // 0000000030C0: BED7001B
	s_mul_i32 s60, s69, s65                                    // 0000000030C4: 923C4145
	s_add_u32 s84, s60, s84                                    // 0000000030C8: 8054543C
	s_addc_u32 s85, 0, s85                                     // 0000000030CC: 82555580
	s_lshr_b32 s60, s64, 7                                     // 0000000030D0: 8F3C8740
	s_mul_i32 s61, s60, 4                                      // 0000000030D4: 923D843C
	v_and_b32_e32 v22, 15, v0                                  // 0000000030D8: 262C008F
	v_mul_lo_u32 v22, v22, s61                                 // 0000000030DC: D2850016 00007B16
	s_lshr_b32 s60, s65, 7                                     // 0000000030E4: 8F3C8741
	s_mul_i32 s60, s60, s61                                    // 0000000030E8: 923C3D3C
	v_add_u32_e64 v23, v22, s60                                // 0000000030EC: D1340017 00007916
	s_mul_i32 s60, s2, 4                                       // 0000000030F4: 923C8402
	s_mul_i32 s60, s60, s61                                    // 0000000030F8: 923C3D3C
	s_mul_i32 s61, s5, s74                                     // 0000000030FC: 923D4A05
	s_add_u32 s61, s61, s60                                    // 000000003100: 803D3C3D
	s_add_u32 s32, s61, s32                                    // 000000003104: 8020203D
	s_addc_u32 s33, 0, s33                                     // 000000003108: 82212180
	s_lshr_b32 s60, s64, 7                                     // 00000000310C: 8F3C8740
	s_lshr_b32 s60, s60, s88                                   // 000000003110: 8F3C583C
	s_mul_i32 s60, s4, s60                                     // 000000003114: 923C3C04
	s_mul_i32 s61, s60, 4                                      // 000000003118: 923D843C
	s_add_u32 s32, s61, s32                                    // 00000000311C: 8020203D
	s_addc_u32 s33, 0, s33                                     // 000000003120: 82212180
	s_lshl_b32 s62, s66, 2                                     // 000000003124: 8E3E8242
	s_mul_i32 s62, s60, s62                                    // 000000003128: 923E3E3C
	s_add_u32 s28, s62, s28                                    // 00000000312C: 801C1C3E
	s_addc_u32 s29, 0, s29                                     // 000000003130: 821D1D80
	s_mov_b32 s4, 4                                            // 000000003134: BE840084
	s_mov_b32 s57, 0x80                                        // 000000003138: BEB900FF 00000080
	s_mov_b32 s58, 0x800                                       // 000000003140: BEBA00FF 00000800
	s_mov_b32 s83, s58                                         // 000000003148: BED3003A
	s_mov_b32 s52, 0x7060302                                   // 00000000314C: BEB400FF 07060302
	s_mov_b32 s53, 0x400                                       // 000000003154: BEB500FF 00000400
	s_mov_b32 s54, 0x40100                                     // 00000000315C: BEB600FF 00040100
	s_mov_b32 s55, 0x4020100                                   // 000000003164: BEB700FF 04020100
	s_mov_b32 s6, 0x3fb8aa3b                                   // 00000000316C: BE8600FF 3FB8AA3B
	s_mov_b32 s78, 0xbd92220c                                  // 000000003174: BECE00FF BD92220C
	s_mov_b32 s79, 0xbd92220c                                  // 00000000317C: BECF00FF BD92220C
	s_mov_b32 m0, s48                                          // 000000003184: BEFC0030
	v_mov_b32_e32 v1, 0xbfcc4231                               // 000000003188: 7E0202FF BFCC4231
	v_mov_b32_e32 v17, 0xffff0000                              // 000000003190: 7E2202FF FFFF0000
	v_mov_b32_e32 v18, 0x7fff0000                              // 000000003198: 7E2402FF 7FFF0000
	v_mov_b32_e32 v19, 0x7fff                                  // 0000000031A0: 7E2602FF 00007FFF
	s_waitcnt vmcnt(0) expcnt(0) lgkmcnt(0)                    // 0000000031A8: BF8C0000
	v_lshrrev_b32_e32 v4, 5, v0                                // 0000000031AC: 20080085
	v_xor_b32_e32 v5, 1, v4                                    // 0000000031B0: 2A0A0881
	v_readlane_b32 s82, v3, 0                                  // 0000000031B4: D2890052 00010103
	s_and_b32 s82, s82, 0xffffff                               // 0000000031BC: 8652FF52 00FFFFFF
	v_mul_lo_u32 v6, v5, s82                                   // 0000000031C4: D2850006 0000A505
	v_readlane_b32 s82, v3, 1                                  // 0000000031CC: D2890052 00010303
	s_and_b32 s82, s82, 0xffffff                               // 0000000031D4: 8652FF52 00FFFFFF
	v_mul_lo_u32 v7, v4, s82                                   // 0000000031DC: D2850007 0000A504
	v_add_u32_e32 v40, v6, v7                                  // 0000000031E4: 68500F06
	v_mul_lo_u32 v40, v40, s68                                 // 0000000031E8: D2850028 00008928
	v_readlane_b32 s82, v3, 2                                  // 0000000031F0: D2890052 00010503
	s_and_b32 s82, s82, 0xffffff                               // 0000000031F8: 8652FF52 00FFFFFF
	v_mul_lo_u32 v6, v5, s82                                   // 000000003200: D2850006 0000A505
	v_readlane_b32 s82, v3, 3                                  // 000000003208: D2890052 00010703
	s_and_b32 s82, s82, 0xffffff                               // 000000003210: 8652FF52 00FFFFFF
	v_mul_lo_u32 v7, v4, s82                                   // 000000003218: D2850007 0000A504
	v_add_u32_e32 v41, v6, v7                                  // 000000003220: 68520F06
	v_mul_lo_u32 v41, v41, s68                                 // 000000003224: D2850029 00008929
	v_readlane_b32 s82, v3, 4                                  // 00000000322C: D2890052 00010903
	s_and_b32 s82, s82, 0xffffff                               // 000000003234: 8652FF52 00FFFFFF
	v_mul_lo_u32 v6, v5, s82                                   // 00000000323C: D2850006 0000A505
	v_readlane_b32 s82, v3, 5                                  // 000000003244: D2890052 00010B03
	s_and_b32 s82, s82, 0xffffff                               // 00000000324C: 8652FF52 00FFFFFF
	v_mul_lo_u32 v7, v4, s82                                   // 000000003254: D2850007 0000A504
	v_add_u32_e32 v42, v6, v7                                  // 00000000325C: 68540F06
	v_mul_lo_u32 v42, v42, s68                                 // 000000003260: D285002A 0000892A
	v_readlane_b32 s82, v3, 6                                  // 000000003268: D2890052 00010D03
	s_and_b32 s82, s82, 0xffffff                               // 000000003270: 8652FF52 00FFFFFF
	v_mul_lo_u32 v6, v5, s82                                   // 000000003278: D2850006 0000A505
	v_readlane_b32 s82, v3, 7                                  // 000000003280: D2890052 00010F03
	s_and_b32 s82, s82, 0xffffff                               // 000000003288: 8652FF52 00FFFFFF
	v_mul_lo_u32 v7, v4, s82                                   // 000000003290: D2850007 0000A504
	v_add_u32_e32 v43, v6, v7                                  // 000000003298: 68560F06
	v_mul_lo_u32 v43, v43, s68                                 // 00000000329C: D285002B 0000892B
	v_readlane_b32 s82, v3, 8                                  // 0000000032A4: D2890052 00011103
	s_and_b32 s82, s82, 0xffffff                               // 0000000032AC: 8652FF52 00FFFFFF
	v_mul_lo_u32 v6, v5, s82                                   // 0000000032B4: D2850006 0000A505
	v_readlane_b32 s82, v3, 9                                  // 0000000032BC: D2890052 00011303
	s_and_b32 s82, s82, 0xffffff                               // 0000000032C4: 8652FF52 00FFFFFF
	v_mul_lo_u32 v7, v4, s82                                   // 0000000032CC: D2850007 0000A504
	v_add_u32_e32 v44, v6, v7                                  // 0000000032D4: 68580F06
	v_mul_lo_u32 v44, v44, s68                                 // 0000000032D8: D285002C 0000892C
	v_readlane_b32 s82, v3, 10                                 // 0000000032E0: D2890052 00011503
	s_and_b32 s82, s82, 0xffffff                               // 0000000032E8: 8652FF52 00FFFFFF
	v_mul_lo_u32 v6, v5, s82                                   // 0000000032F0: D2850006 0000A505
	v_readlane_b32 s82, v3, 11                                 // 0000000032F8: D2890052 00011703
	s_and_b32 s82, s82, 0xffffff                               // 000000003300: 8652FF52 00FFFFFF
	v_mul_lo_u32 v7, v4, s82                                   // 000000003308: D2850007 0000A504
	v_add_u32_e32 v45, v6, v7                                  // 000000003310: 685A0F06
	v_mul_lo_u32 v45, v45, s68                                 // 000000003314: D285002D 0000892D
	v_and_b32_e32 v4, 31, v0                                   // 00000000331C: 2608009F
	v_lshlrev_b32_e32 v4, 2, v4                                // 000000003320: 24080882
	v_add_u32_e32 v40, v40, v4                                 // 000000003324: 68500928
	v_add_u32_e32 v41, v41, v4                                 // 000000003328: 68520929
	v_add_u32_e32 v42, v42, v4                                 // 00000000332C: 6854092A
	v_add_u32_e32 v43, v43, v4                                 // 000000003330: 6856092B
	v_add_u32_e32 v44, v44, v4                                 // 000000003334: 6858092C
	v_add_u32_e32 v45, v45, v4                                 // 000000003338: 685A092D
	v_and_b32_e32 v28, 0xffffff, v28                           // 00000000333C: 263838FF 00FFFFFF
	v_lshlrev_b32_e32 v28, 2, v28                              // 000000003344: 24383882
	v_and_b32_e32 v29, 0xffffff, v29                           // 000000003348: 263A3AFF 00FFFFFF
	v_lshlrev_b32_e32 v29, 2, v29                              // 000000003350: 243A3A82
	v_and_b32_e32 v30, 0xffffff, v30                           // 000000003354: 263C3CFF 00FFFFFF
	v_lshlrev_b32_e32 v30, 2, v30                              // 00000000335C: 243C3C82
	s_lshl_b32 s3, s66, 2                                      // 000000003360: 8E038242
	buffer_load_dword v40, s[20:23], 0 offen lds               // 000000003364: E0511000 80050028
	s_add_u32 m0, 0x100, s48                                   // 00000000336C: 807C30FF 00000100
	buffer_load_dword v41, s[20:23], 0 offen lds               // 000000003374: E0511000 80050029
	s_add_u32 m0, 0x200, s48                                   // 00000000337C: 807C30FF 00000200
	buffer_load_dword v42, s[20:23], 0 offen lds               // 000000003384: E0511000 8005002A
	s_add_u32 m0, 0x300, s48                                   // 00000000338C: 807C30FF 00000300
	buffer_load_dword v43, s[20:23], 0 offen lds               // 000000003394: E0511000 8005002B
	s_add_u32 m0, 0x400, s48                                   // 00000000339C: 807C30FF 00000400
	buffer_load_dword v44, s[20:23], 0 offen lds               // 0000000033A4: E0511000 8005002C
	s_add_u32 m0, 0x500, s48                                   // 0000000033AC: 807C30FF 00000500
	buffer_load_dword v45, s[20:23], 0 offen lds               // 0000000033B4: E0511000 8005002D
	s_add_u32 m0, 0, s49                                       // 0000000033BC: 807C3180
	s_add_u32 s20, s57, s20                                    // 0000000033C0: 80141439
	s_addc_u32 s21, 0, s21                                     // 0000000033C4: 82151580
	buffer_load_dword v31, v28, s[28:31], 0 offen              // 0000000033C8: E0501000 80071F1C
	buffer_load_dword v32, v29, s[28:31], 0 offen              // 0000000033D0: E0501000 8007201D
	buffer_load_dword v33, v30, s[28:31], 0 offen              // 0000000033D8: E0501000 8007211E
	s_add_u32 s28, s3, s28                                     // 0000000033E0: 801C1C03
	s_addc_u32 s29, 0, s29                                     // 0000000033E4: 821D1D80
	buffer_load_dword v40, s[20:23], 0 offen lds               // 0000000033E8: E0511000 80050028
	s_add_u32 m0, 0x100, s49                                   // 0000000033F0: 807C31FF 00000100
	buffer_load_dword v41, s[20:23], 0 offen lds               // 0000000033F8: E0511000 80050029
	s_add_u32 m0, 0x200, s49                                   // 000000003400: 807C31FF 00000200
	buffer_load_dword v42, s[20:23], 0 offen lds               // 000000003408: E0511000 8005002A
	s_add_u32 m0, 0x300, s49                                   // 000000003410: 807C31FF 00000300
	buffer_load_dword v43, s[20:23], 0 offen lds               // 000000003418: E0511000 8005002B
	s_add_u32 m0, 0x400, s49                                   // 000000003420: 807C31FF 00000400
	buffer_load_dword v44, s[20:23], 0 offen lds               // 000000003428: E0511000 8005002C
	s_add_u32 m0, 0x500, s49                                   // 000000003430: 807C31FF 00000500
	buffer_load_dword v45, s[20:23], 0 offen lds               // 000000003438: E0511000 8005002D
	s_add_u32 m0, 0, s48                                       // 000000003440: 807C3080
	s_add_u32 s20, s57, s20                                    // 000000003444: 80141439
	s_addc_u32 s21, 0, s21                                     // 000000003448: 82151580
	buffer_load_dword v34, v28, s[28:31], 0 offen              // 00000000344C: E0501000 8007221C
	buffer_load_dword v35, v29, s[28:31], 0 offen              // 000000003454: E0501000 8007231D
	buffer_load_dword v36, v30, s[28:31], 0 offen              // 00000000345C: E0501000 8007241E
	s_add_u32 s28, s3, s28                                     // 000000003464: 801C1C03
	s_addc_u32 s29, 0, s29                                     // 000000003468: 821D1D80
	buffer_load_dword v24, v22, s[32:35], 0 offen              // 00000000346C: E0501000 80081816
	buffer_load_dwordx4 a[48:51], v46, s[24:27], 0 offen       // 000000003474: E05C1000 8086302E
	buffer_load_dwordx4 a[52:55], v46, s[24:27], 0 offen offset:1024// 00000000347C: E05C1400 8086342E
	buffer_load_dwordx4 a[56:59], v47, s[24:27], 0 offen       // 000000003484: E05C1000 8086382F
	buffer_load_dwordx4 a[60:63], v47, s[24:27], 0 offen offset:1024// 00000000348C: E05C1400 80863C2F
	buffer_load_dwordx4 a[64:67], v48, s[24:27], 0 offen       // 000000003494: E05C1000 80864030
	buffer_load_dwordx4 a[68:71], v48, s[24:27], 0 offen offset:1024// 00000000349C: E05C1400 80864430
	buffer_load_dwordx4 a[72:75], v49, s[24:27], 0 offen       // 0000000034A4: E05C1000 80864831
	buffer_load_dwordx4 a[76:79], v49, s[24:27], 0 offen offset:1024// 0000000034AC: E05C1400 80864C31
	buffer_load_dwordx4 a[80:83], v50, s[24:27], 0 offen       // 0000000034B4: E05C1000 80865032
	buffer_load_dwordx4 a[84:87], v50, s[24:27], 0 offen offset:1024// 0000000034BC: E05C1400 80865432
	buffer_load_dwordx4 a[88:91], v51, s[24:27], 0 offen       // 0000000034C4: E05C1000 80865833
	buffer_load_dwordx4 a[92:95], v51, s[24:27], 0 offen offset:1024// 0000000034CC: E05C1400 80865C33
	buffer_load_dwordx4 a[96:99], v52, s[24:27], 0 offen       // 0000000034D4: E05C1000 80866034
	buffer_load_dwordx4 a[100:103], v52, s[24:27], 0 offen offset:1024// 0000000034DC: E05C1400 80866434
	buffer_load_dwordx4 a[104:107], v53, s[24:27], 0 offen     // 0000000034E4: E05C1000 80866835
	buffer_load_dwordx4 a[108:111], v53, s[24:27], 0 offen offset:1024// 0000000034EC: E05C1400 80866C35
	s_add_u32 s24, s58, s24                                    // 0000000034F4: 8018183A
	s_addc_u32 s25, 0, s25                                     // 0000000034F8: 82191980
	s_waitcnt vmcnt(29)                                        // 0000000034FC: BF8C4F7D
	s_barrier                                                  // 000000003500: BF8A0000
	ds_read_b128 a[0:3], v2                                    // 000000003504: DBFE0000 00000002
	ds_read_b128 a[4:7], v2 offset:64                          // 00000000350C: DBFE0040 04000002
	ds_read_b128 a[8:11], v2 offset:512                        // 000000003514: DBFE0200 08000002
	ds_read_b128 a[12:15], v2 offset:576                       // 00000000351C: DBFE0240 0C000002
	ds_read_b128 a[16:19], v2 offset:1024                      // 000000003524: DBFE0400 10000002
	ds_read_b128 a[20:23], v2 offset:1088                      // 00000000352C: DBFE0440 14000002
	s_cmp_lt_i32 s7, 2                                         // 000000003534: BF048207
	s_cbranch_scc0 label_1D4C                                  // 000000003538: BF841A7A

000000000000353c <label_02CF>:
	s_waitcnt vmcnt(14) lgkmcnt(0)                             // 00000000353C: BF8C007E
	s_barrier                                                  // 000000003540: BF8A0000
	v_mov_b32_e32 v37, v31                                     // 000000003544: 7E4A031F
	v_mov_b32_e32 v38, v32                                     // 000000003548: 7E4C0320
	v_mov_b32_e32 v39, v33                                     // 00000000354C: 7E4E0321
	v_mul_f32_dpp v4, v24, v37 row_newbcast:0 row_mask:0xf bank_mask:0xf// 000000003550: 0A084AFA FF015018
	v_mfma_f32_16x16x32_fp8_fp8 v[8:11], a[48:49], a[0:1], 0   // 000000003558: D3F30008 1A020130
	buffer_load_dword v27, v23, s[32:35], 0 offen              // 000000003560: E0501000 80081B17
	v_mfma_f32_16x16x32_fp8_fp8 v[8:11], a[50:51], a[2:3], v[8:11]// 000000003568: D3F30008 1C220532
	buffer_load_dwordx4 a[112:115], v46, s[84:87], 0 offen     // 000000003570: E05C1000 8095702E
	v_mfma_f32_16x16x32_fp8_fp8 v[8:11], a[52:53], a[4:5], v[8:11]// 000000003578: D3F30008 1C220934
	v_mfma_f32_16x16x32_fp8_fp8 v[8:11], a[54:55], a[6:7], v[8:11]// 000000003580: D3F30008 1C220D36
	v_mul_f32_dpp v6, v24, v38 row_newbcast:0 row_mask:0xf bank_mask:0xf// 000000003588: 0A0C4CFA FF015018
	v_mfma_f32_16x16x32_fp8_fp8 v[12:15], a[48:49], a[8:9], 0  // 000000003590: D3F3000C 1A021130
	v_mfma_f32_16x16x32_fp8_fp8 v[12:15], a[50:51], a[10:11], v[12:15]// 000000003598: D3F3000C 1C321532
	buffer_load_dwordx4 a[116:119], v46, s[84:87], 0 offen offset:1024// 0000000035A0: E05C1400 8095742E
	v_mfma_f32_16x16x32_fp8_fp8 v[12:15], a[52:53], a[12:13], v[12:15]// 0000000035A8: D3F3000C 1C321934
	v_mfma_f32_16x16x32_fp8_fp8 v[12:15], a[54:55], a[14:15], v[12:15]// 0000000035B0: D3F3000C 1C321D36
	v_fma_f32 v56, v8, v4, v56                                 // 0000000035B8: D1CB0038 04E20908
	v_fma_f32 v57, v9, v4, v57                                 // 0000000035C0: D1CB0039 04E60909
	v_fma_f32 v58, v10, v4, v58                                // 0000000035C8: D1CB003A 04EA090A
	v_fma_f32 v59, v11, v4, v59                                // 0000000035D0: D1CB003B 04EE090B
	v_mul_f32_dpp v4, v24, v39 row_newbcast:0 row_mask:0xf bank_mask:0xf// 0000000035D8: 0A084EFA FF015018
	v_mfma_f32_16x16x32_fp8_fp8 v[8:11], a[48:49], a[16:17], 0 // 0000000035E0: D3F30008 1A022130
	v_mfma_f32_16x16x32_fp8_fp8 v[8:11], a[50:51], a[18:19], v[8:11]// 0000000035E8: D3F30008 1C222532
	buffer_load_dwordx4 a[120:123], v47, s[84:87], 0 offen     // 0000000035F0: E05C1000 8095782F
	v_mfma_f32_16x16x32_fp8_fp8 v[8:11], a[52:53], a[20:21], v[8:11]// 0000000035F8: D3F30008 1C222934
	v_mfma_f32_16x16x32_fp8_fp8 v[8:11], a[54:55], a[22:23], v[8:11]// 000000003600: D3F30008 1C222D36
	v_fma_f32 v60, v12, v6, v60                                // 000000003608: D1CB003C 04F20D0C
	v_fma_f32 v61, v13, v6, v61                                // 000000003610: D1CB003D 04F60D0D
	v_fma_f32 v62, v14, v6, v62                                // 000000003618: D1CB003E 04FA0D0E
	v_fma_f32 v63, v15, v6, v63                                // 000000003620: D1CB003F 04FE0D0F
	s_waitcnt vmcnt(16)                                        // 000000003628: BF8C4F70
	v_mul_f32_dpp v6, v24, v37 row_newbcast:0 row_mask:0xf bank_mask:0xf// 00000000362C: 0A0C4AFA FF015018
	v_mfma_f32_16x16x32_fp8_fp8 v[12:15], a[56:57], a[0:1], 0  // 000000003634: D3F3000C 1A020138
	v_mfma_f32_16x16x32_fp8_fp8 v[12:15], a[58:59], a[2:3], v[12:15]// 00000000363C: D3F3000C 1C32053A
	buffer_load_dwordx4 a[124:127], v47, s[84:87], 0 offen offset:1024// 000000003644: E05C1400 80957C2F
	v_mfma_f32_16x16x32_fp8_fp8 v[12:15], a[60:61], a[4:5], v[12:15]// 00000000364C: D3F3000C 1C32093C
	v_mfma_f32_16x16x32_fp8_fp8 v[12:15], a[62:63], a[6:7], v[12:15]// 000000003654: D3F3000C 1C320D3E
	v_fma_f32 v64, v8, v4, v64                                 // 00000000365C: D1CB0040 05020908
	v_fma_f32 v65, v9, v4, v65                                 // 000000003664: D1CB0041 05060909
	v_fma_f32 v66, v10, v4, v66                                // 00000000366C: D1CB0042 050A090A
	v_fma_f32 v67, v11, v4, v67                                // 000000003674: D1CB0043 050E090B
	v_mul_f32_dpp v4, v24, v38 row_newbcast:0 row_mask:0xf bank_mask:0xf// 00000000367C: 0A084CFA FF015018
	v_mfma_f32_16x16x32_fp8_fp8 v[8:11], a[56:57], a[8:9], 0   // 000000003684: D3F30008 1A021138
	v_mfma_f32_16x16x32_fp8_fp8 v[8:11], a[58:59], a[10:11], v[8:11]// 00000000368C: D3F30008 1C22153A
	buffer_load_dwordx4 a[128:131], v48, s[84:87], 0 offen     // 000000003694: E05C1000 80958030
	v_mfma_f32_16x16x32_fp8_fp8 v[8:11], a[60:61], a[12:13], v[8:11]// 00000000369C: D3F30008 1C22193C
	v_mfma_f32_16x16x32_fp8_fp8 v[8:11], a[62:63], a[14:15], v[8:11]// 0000000036A4: D3F30008 1C221D3E
	v_fma_f32 v68, v12, v6, v68                                // 0000000036AC: D1CB0044 05120D0C
	v_fma_f32 v69, v13, v6, v69                                // 0000000036B4: D1CB0045 05160D0D
	v_fma_f32 v70, v14, v6, v70                                // 0000000036BC: D1CB0046 051A0D0E
	v_fma_f32 v71, v15, v6, v71                                // 0000000036C4: D1CB0047 051E0D0F
	v_mul_f32_dpp v6, v24, v39 row_newbcast:0 row_mask:0xf bank_mask:0xf// 0000000036CC: 0A0C4EFA FF015018
	v_mfma_f32_16x16x32_fp8_fp8 v[12:15], a[56:57], a[16:17], 0// 0000000036D4: D3F3000C 1A022138
	v_mfma_f32_16x16x32_fp8_fp8 v[12:15], a[58:59], a[18:19], v[12:15]// 0000000036DC: D3F3000C 1C32253A
	buffer_load_dwordx4 a[132:135], v48, s[84:87], 0 offen offset:1024// 0000000036E4: E05C1400 80958430
	v_mfma_f32_16x16x32_fp8_fp8 v[12:15], a[60:61], a[20:21], v[12:15]// 0000000036EC: D3F3000C 1C32293C
	v_mfma_f32_16x16x32_fp8_fp8 v[12:15], a[62:63], a[22:23], v[12:15]// 0000000036F4: D3F3000C 1C322D3E
	v_fma_f32 v72, v8, v4, v72                                 // 0000000036FC: D1CB0048 05220908
	v_fma_f32 v73, v9, v4, v73                                 // 000000003704: D1CB0049 05260909
	v_fma_f32 v74, v10, v4, v74                                // 00000000370C: D1CB004A 052A090A
	v_fma_f32 v75, v11, v4, v75                                // 000000003714: D1CB004B 052E090B
	s_waitcnt vmcnt(17)                                        // 00000000371C: BF8C4F71
	v_mul_f32_dpp v4, v24, v37 row_newbcast:1 row_mask:0xf bank_mask:0xf// 000000003720: 0A084AFA FF015118
	v_mfma_f32_16x16x32_fp8_fp8 v[8:11], a[64:65], a[0:1], 0   // 000000003728: D3F30008 1A020140
	v_mfma_f32_16x16x32_fp8_fp8 v[8:11], a[66:67], a[2:3], v[8:11]// 000000003730: D3F30008 1C220542
	buffer_load_dwordx4 a[136:139], v49, s[84:87], 0 offen     // 000000003738: E05C1000 80958831
	v_mfma_f32_16x16x32_fp8_fp8 v[8:11], a[68:69], a[4:5], v[8:11]// 000000003740: D3F30008 1C220944
	v_mfma_f32_16x16x32_fp8_fp8 v[8:11], a[70:71], a[6:7], v[8:11]// 000000003748: D3F30008 1C220D46
	v_fma_f32 v76, v12, v6, v76                                // 000000003750: D1CB004C 05320D0C
	v_fma_f32 v77, v13, v6, v77                                // 000000003758: D1CB004D 05360D0D
	v_fma_f32 v78, v14, v6, v78                                // 000000003760: D1CB004E 053A0D0E
	v_fma_f32 v79, v15, v6, v79                                // 000000003768: D1CB004F 053E0D0F
	v_mul_f32_dpp v6, v24, v38 row_newbcast:1 row_mask:0xf bank_mask:0xf// 000000003770: 0A0C4CFA FF015118
	v_mfma_f32_16x16x32_fp8_fp8 v[12:15], a[64:65], a[8:9], 0  // 000000003778: D3F3000C 1A021140
	v_mfma_f32_16x16x32_fp8_fp8 v[12:15], a[66:67], a[10:11], v[12:15]// 000000003780: D3F3000C 1C321542
	buffer_load_dwordx4 a[140:143], v49, s[84:87], 0 offen offset:1024// 000000003788: E05C1400 80958C31
	v_mfma_f32_16x16x32_fp8_fp8 v[12:15], a[68:69], a[12:13], v[12:15]// 000000003790: D3F3000C 1C321944
	v_mfma_f32_16x16x32_fp8_fp8 v[12:15], a[70:71], a[14:15], v[12:15]// 000000003798: D3F3000C 1C321D46
	v_fma_f32 v80, v8, v4, v80                                 // 0000000037A0: D1CB0050 05420908
	v_fma_f32 v81, v9, v4, v81                                 // 0000000037A8: D1CB0051 05460909
	v_fma_f32 v82, v10, v4, v82                                // 0000000037B0: D1CB0052 054A090A
	v_fma_f32 v83, v11, v4, v83                                // 0000000037B8: D1CB0053 054E090B
	v_mul_f32_dpp v4, v24, v39 row_newbcast:1 row_mask:0xf bank_mask:0xf// 0000000037C0: 0A084EFA FF015118
	v_mfma_f32_16x16x32_fp8_fp8 v[8:11], a[64:65], a[16:17], 0 // 0000000037C8: D3F30008 1A022140
	v_mfma_f32_16x16x32_fp8_fp8 v[8:11], a[66:67], a[18:19], v[8:11]// 0000000037D0: D3F30008 1C222542
	buffer_load_dwordx4 a[144:147], v50, s[84:87], 0 offen     // 0000000037D8: E05C1000 80959032
	v_mfma_f32_16x16x32_fp8_fp8 v[8:11], a[68:69], a[20:21], v[8:11]// 0000000037E0: D3F30008 1C222944
	v_mfma_f32_16x16x32_fp8_fp8 v[8:11], a[70:71], a[22:23], v[8:11]// 0000000037E8: D3F30008 1C222D46
	v_fma_f32 v84, v12, v6, v84                                // 0000000037F0: D1CB0054 05520D0C
	v_fma_f32 v85, v13, v6, v85                                // 0000000037F8: D1CB0055 05560D0D
	v_fma_f32 v86, v14, v6, v86                                // 000000003800: D1CB0056 055A0D0E
	v_fma_f32 v87, v15, v6, v87                                // 000000003808: D1CB0057 055E0D0F
	s_waitcnt vmcnt(18)                                        // 000000003810: BF8C4F72
	v_mul_f32_dpp v6, v24, v37 row_newbcast:1 row_mask:0xf bank_mask:0xf// 000000003814: 0A0C4AFA FF015118
	v_mfma_f32_16x16x32_fp8_fp8 v[12:15], a[72:73], a[0:1], 0  // 00000000381C: D3F3000C 1A020148
	v_mfma_f32_16x16x32_fp8_fp8 v[12:15], a[74:75], a[2:3], v[12:15]// 000000003824: D3F3000C 1C32054A
	buffer_load_dwordx4 a[148:151], v50, s[84:87], 0 offen offset:1024// 00000000382C: E05C1400 80959432
	v_mfma_f32_16x16x32_fp8_fp8 v[12:15], a[76:77], a[4:5], v[12:15]// 000000003834: D3F3000C 1C32094C
	v_mfma_f32_16x16x32_fp8_fp8 v[12:15], a[78:79], a[6:7], v[12:15]// 00000000383C: D3F3000C 1C320D4E
	v_fma_f32 v88, v8, v4, v88                                 // 000000003844: D1CB0058 05620908
	v_fma_f32 v89, v9, v4, v89                                 // 00000000384C: D1CB0059 05660909
	v_fma_f32 v90, v10, v4, v90                                // 000000003854: D1CB005A 056A090A
	v_fma_f32 v91, v11, v4, v91                                // 00000000385C: D1CB005B 056E090B
	v_mul_f32_dpp v4, v24, v38 row_newbcast:1 row_mask:0xf bank_mask:0xf// 000000003864: 0A084CFA FF015118
	v_mfma_f32_16x16x32_fp8_fp8 v[8:11], a[72:73], a[8:9], 0   // 00000000386C: D3F30008 1A021148
	v_mfma_f32_16x16x32_fp8_fp8 v[8:11], a[74:75], a[10:11], v[8:11]// 000000003874: D3F30008 1C22154A
	buffer_load_dwordx4 a[152:155], v51, s[84:87], 0 offen     // 00000000387C: E05C1000 80959833
	v_mfma_f32_16x16x32_fp8_fp8 v[8:11], a[76:77], a[12:13], v[8:11]// 000000003884: D3F30008 1C22194C
	v_mfma_f32_16x16x32_fp8_fp8 v[8:11], a[78:79], a[14:15], v[8:11]// 00000000388C: D3F30008 1C221D4E
	v_fma_f32 v92, v12, v6, v92                                // 000000003894: D1CB005C 05720D0C
	v_fma_f32 v93, v13, v6, v93                                // 00000000389C: D1CB005D 05760D0D
	v_fma_f32 v94, v14, v6, v94                                // 0000000038A4: D1CB005E 057A0D0E
	v_fma_f32 v95, v15, v6, v95                                // 0000000038AC: D1CB005F 057E0D0F
	v_mul_f32_dpp v6, v24, v39 row_newbcast:1 row_mask:0xf bank_mask:0xf// 0000000038B4: 0A0C4EFA FF015118
	v_mfma_f32_16x16x32_fp8_fp8 v[12:15], a[72:73], a[16:17], 0// 0000000038BC: D3F3000C 1A022148
	v_mfma_f32_16x16x32_fp8_fp8 v[12:15], a[74:75], a[18:19], v[12:15]// 0000000038C4: D3F3000C 1C32254A
	buffer_load_dwordx4 a[156:159], v51, s[84:87], 0 offen offset:1024// 0000000038CC: E05C1400 80959C33
	v_mfma_f32_16x16x32_fp8_fp8 v[12:15], a[76:77], a[20:21], v[12:15]// 0000000038D4: D3F3000C 1C32294C
	v_mfma_f32_16x16x32_fp8_fp8 v[12:15], a[78:79], a[22:23], v[12:15]// 0000000038DC: D3F3000C 1C322D4E
	v_fma_f32 v96, v8, v4, v96                                 // 0000000038E4: D1CB0060 05820908
	v_fma_f32 v97, v9, v4, v97                                 // 0000000038EC: D1CB0061 05860909
	v_fma_f32 v98, v10, v4, v98                                // 0000000038F4: D1CB0062 058A090A
	v_fma_f32 v99, v11, v4, v99                                // 0000000038FC: D1CB0063 058E090B
	s_waitcnt vmcnt(19)                                        // 000000003904: BF8C4F73
	v_mul_f32_dpp v4, v24, v37 row_newbcast:2 row_mask:0xf bank_mask:0xf// 000000003908: 0A084AFA FF015218
	v_mfma_f32_16x16x32_fp8_fp8 v[8:11], a[80:81], a[0:1], 0   // 000000003910: D3F30008 1A020150
	v_mfma_f32_16x16x32_fp8_fp8 v[8:11], a[82:83], a[2:3], v[8:11]// 000000003918: D3F30008 1C220552
	buffer_load_dwordx4 a[160:163], v52, s[84:87], 0 offen     // 000000003920: E05C1000 8095A034
	v_mfma_f32_16x16x32_fp8_fp8 v[8:11], a[84:85], a[4:5], v[8:11]// 000000003928: D3F30008 1C220954
	v_mfma_f32_16x16x32_fp8_fp8 v[8:11], a[86:87], a[6:7], v[8:11]// 000000003930: D3F30008 1C220D56
	v_fma_f32 v100, v12, v6, v100                              // 000000003938: D1CB0064 05920D0C
	v_fma_f32 v101, v13, v6, v101                              // 000000003940: D1CB0065 05960D0D
	v_fma_f32 v102, v14, v6, v102                              // 000000003948: D1CB0066 059A0D0E
	v_fma_f32 v103, v15, v6, v103                              // 000000003950: D1CB0067 059E0D0F
	v_mul_f32_dpp v6, v24, v38 row_newbcast:2 row_mask:0xf bank_mask:0xf// 000000003958: 0A0C4CFA FF015218
	v_mfma_f32_16x16x32_fp8_fp8 v[12:15], a[80:81], a[8:9], 0  // 000000003960: D3F3000C 1A021150
	v_mfma_f32_16x16x32_fp8_fp8 v[12:15], a[82:83], a[10:11], v[12:15]// 000000003968: D3F3000C 1C321552
	buffer_load_dwordx4 a[164:167], v52, s[84:87], 0 offen offset:1024// 000000003970: E05C1400 8095A434
	v_mfma_f32_16x16x32_fp8_fp8 v[12:15], a[84:85], a[12:13], v[12:15]// 000000003978: D3F3000C 1C321954
	v_mfma_f32_16x16x32_fp8_fp8 v[12:15], a[86:87], a[14:15], v[12:15]// 000000003980: D3F3000C 1C321D56
	v_fma_f32 v104, v8, v4, v104                               // 000000003988: D1CB0068 05A20908
	v_fma_f32 v105, v9, v4, v105                               // 000000003990: D1CB0069 05A60909
	v_fma_f32 v106, v10, v4, v106                              // 000000003998: D1CB006A 05AA090A
	v_fma_f32 v107, v11, v4, v107                              // 0000000039A0: D1CB006B 05AE090B
	v_mul_f32_dpp v4, v24, v39 row_newbcast:2 row_mask:0xf bank_mask:0xf// 0000000039A8: 0A084EFA FF015218
	v_mfma_f32_16x16x32_fp8_fp8 v[8:11], a[80:81], a[16:17], 0 // 0000000039B0: D3F30008 1A022150
	v_mfma_f32_16x16x32_fp8_fp8 v[8:11], a[82:83], a[18:19], v[8:11]// 0000000039B8: D3F30008 1C222552
	buffer_load_dwordx4 a[168:171], v53, s[84:87], 0 offen     // 0000000039C0: E05C1000 8095A835
	v_mfma_f32_16x16x32_fp8_fp8 v[8:11], a[84:85], a[20:21], v[8:11]// 0000000039C8: D3F30008 1C222954
	v_mfma_f32_16x16x32_fp8_fp8 v[8:11], a[86:87], a[22:23], v[8:11]// 0000000039D0: D3F30008 1C222D56
	v_fma_f32 v108, v12, v6, v108                              // 0000000039D8: D1CB006C 05B20D0C
	v_fma_f32 v109, v13, v6, v109                              // 0000000039E0: D1CB006D 05B60D0D
	v_fma_f32 v110, v14, v6, v110                              // 0000000039E8: D1CB006E 05BA0D0E
	v_fma_f32 v111, v15, v6, v111                              // 0000000039F0: D1CB006F 05BE0D0F
	s_waitcnt vmcnt(20)                                        // 0000000039F8: BF8C4F74
	v_mul_f32_dpp v6, v24, v37 row_newbcast:2 row_mask:0xf bank_mask:0xf// 0000000039FC: 0A0C4AFA FF015218
	v_mfma_f32_16x16x32_fp8_fp8 v[12:15], a[88:89], a[0:1], 0  // 000000003A04: D3F3000C 1A020158
	v_mfma_f32_16x16x32_fp8_fp8 v[12:15], a[90:91], a[2:3], v[12:15]// 000000003A0C: D3F3000C 1C32055A
	buffer_load_dwordx4 a[172:175], v53, s[84:87], 0 offen offset:1024// 000000003A14: E05C1400 8095AC35
	buffer_load_dword v40, s[20:23], 0 offen lds               // 000000003A1C: E0511000 80050028
	s_add_u32 m0, 0x100, s48                                   // 000000003A24: 807C30FF 00000100
	v_mfma_f32_16x16x32_fp8_fp8 v[12:15], a[92:93], a[4:5], v[12:15]// 000000003A2C: D3F3000C 1C32095C
	v_mfma_f32_16x16x32_fp8_fp8 v[12:15], a[94:95], a[6:7], v[12:15]// 000000003A34: D3F3000C 1C320D5E
	buffer_load_dword v41, s[20:23], 0 offen lds               // 000000003A3C: E0511000 80050029
	s_add_u32 m0, 0x200, s48                                   // 000000003A44: 807C30FF 00000200
	v_fma_f32 v112, v8, v4, v112                               // 000000003A4C: D1CB0070 05C20908
	v_fma_f32 v113, v9, v4, v113                               // 000000003A54: D1CB0071 05C60909
	v_fma_f32 v114, v10, v4, v114                              // 000000003A5C: D1CB0072 05CA090A
	v_fma_f32 v115, v11, v4, v115                              // 000000003A64: D1CB0073 05CE090B
	v_mul_f32_dpp v4, v24, v38 row_newbcast:2 row_mask:0xf bank_mask:0xf// 000000003A6C: 0A084CFA FF015218
	v_mfma_f32_16x16x32_fp8_fp8 v[8:11], a[88:89], a[8:9], 0   // 000000003A74: D3F30008 1A021158
	v_mfma_f32_16x16x32_fp8_fp8 v[8:11], a[90:91], a[10:11], v[8:11]// 000000003A7C: D3F30008 1C22155A
	buffer_load_dword v42, s[20:23], 0 offen lds               // 000000003A84: E0511000 8005002A
	s_add_u32 m0, 0x300, s48                                   // 000000003A8C: 807C30FF 00000300
	v_mfma_f32_16x16x32_fp8_fp8 v[8:11], a[92:93], a[12:13], v[8:11]// 000000003A94: D3F30008 1C22195C
	v_mfma_f32_16x16x32_fp8_fp8 v[8:11], a[94:95], a[14:15], v[8:11]// 000000003A9C: D3F30008 1C221D5E
	buffer_load_dword v43, s[20:23], 0 offen lds               // 000000003AA4: E0511000 8005002B
	s_add_u32 m0, 0x400, s48                                   // 000000003AAC: 807C30FF 00000400
	v_fma_f32 v116, v12, v6, v116                              // 000000003AB4: D1CB0074 05D20D0C
	v_fma_f32 v117, v13, v6, v117                              // 000000003ABC: D1CB0075 05D60D0D
	v_fma_f32 v118, v14, v6, v118                              // 000000003AC4: D1CB0076 05DA0D0E
	v_fma_f32 v119, v15, v6, v119                              // 000000003ACC: D1CB0077 05DE0D0F
	v_mul_f32_dpp v6, v24, v39 row_newbcast:2 row_mask:0xf bank_mask:0xf// 000000003AD4: 0A0C4EFA FF015218
	v_mfma_f32_16x16x32_fp8_fp8 v[12:15], a[88:89], a[16:17], 0// 000000003ADC: D3F3000C 1A022158
	v_mfma_f32_16x16x32_fp8_fp8 v[12:15], a[90:91], a[18:19], v[12:15]// 000000003AE4: D3F3000C 1C32255A
	buffer_load_dword v44, s[20:23], 0 offen lds               // 000000003AEC: E0511000 8005002C
	s_add_u32 m0, 0x500, s48                                   // 000000003AF4: 807C30FF 00000500
	v_mfma_f32_16x16x32_fp8_fp8 v[12:15], a[92:93], a[20:21], v[12:15]// 000000003AFC: D3F3000C 1C32295C
	v_mfma_f32_16x16x32_fp8_fp8 v[12:15], a[94:95], a[22:23], v[12:15]// 000000003B04: D3F3000C 1C322D5E
	buffer_load_dword v45, s[20:23], 0 offen lds               // 000000003B0C: E0511000 8005002D
	s_add_u32 m0, 0, s49                                       // 000000003B14: 807C3180
	v_fma_f32 v120, v8, v4, v120                               // 000000003B18: D1CB0078 05E20908
	v_fma_f32 v121, v9, v4, v121                               // 000000003B20: D1CB0079 05E60909
	v_fma_f32 v122, v10, v4, v122                              // 000000003B28: D1CB007A 05EA090A
	v_fma_f32 v123, v11, v4, v123                              // 000000003B30: D1CB007B 05EE090B
	s_waitcnt vmcnt(25)                                        // 000000003B38: BF8C4F79
	v_mul_f32_dpp v4, v24, v37 row_newbcast:3 row_mask:0xf bank_mask:0xf// 000000003B3C: 0A084AFA FF015318
	v_mfma_f32_16x16x32_fp8_fp8 v[8:11], a[96:97], a[0:1], 0   // 000000003B44: D3F30008 1A020160
	v_mfma_f32_16x16x32_fp8_fp8 v[8:11], a[98:99], a[2:3], v[8:11]// 000000003B4C: D3F30008 1C220562
	buffer_load_dword v31, v28, s[28:31], 0 offen              // 000000003B54: E0501000 80071F1C
	v_mfma_f32_16x16x32_fp8_fp8 v[8:11], a[100:101], a[4:5], v[8:11]// 000000003B5C: D3F30008 1C220964
	v_mfma_f32_16x16x32_fp8_fp8 v[8:11], a[102:103], a[6:7], v[8:11]// 000000003B64: D3F30008 1C220D66
	buffer_load_dword v32, v29, s[28:31], 0 offen              // 000000003B6C: E0501000 8007201D
	v_fma_f32 v124, v12, v6, v124                              // 000000003B74: D1CB007C 05F20D0C
	v_fma_f32 v125, v13, v6, v125                              // 000000003B7C: D1CB007D 05F60D0D
	v_fma_f32 v126, v14, v6, v126                              // 000000003B84: D1CB007E 05FA0D0E
	v_fma_f32 v127, v15, v6, v127                              // 000000003B8C: D1CB007F 05FE0D0F
	v_mul_f32_dpp v6, v24, v38 row_newbcast:3 row_mask:0xf bank_mask:0xf// 000000003B94: 0A0C4CFA FF015318
	v_mfma_f32_16x16x32_fp8_fp8 v[12:15], a[96:97], a[8:9], 0  // 000000003B9C: D3F3000C 1A021160
	v_mfma_f32_16x16x32_fp8_fp8 v[12:15], a[98:99], a[10:11], v[12:15]// 000000003BA4: D3F3000C 1C321562
	buffer_load_dword v33, v30, s[28:31], 0 offen              // 000000003BAC: E0501000 8007211E
	v_mfma_f32_16x16x32_fp8_fp8 v[12:15], a[100:101], a[12:13], v[12:15]// 000000003BB4: D3F3000C 1C321964
	v_mfma_f32_16x16x32_fp8_fp8 v[12:15], a[102:103], a[14:15], v[12:15]// 000000003BBC: D3F3000C 1C321D66
	v_fma_f32 v128, v8, v4, v128                               // 000000003BC4: D1CB0080 06020908
	v_fma_f32 v129, v9, v4, v129                               // 000000003BCC: D1CB0081 06060909
	v_fma_f32 v130, v10, v4, v130                              // 000000003BD4: D1CB0082 060A090A
	v_fma_f32 v131, v11, v4, v131                              // 000000003BDC: D1CB0083 060E090B
	v_mul_f32_dpp v4, v24, v39 row_newbcast:3 row_mask:0xf bank_mask:0xf// 000000003BE4: 0A084EFA FF015318
	v_mfma_f32_16x16x32_fp8_fp8 v[8:11], a[96:97], a[16:17], 0 // 000000003BEC: D3F30008 1A022160
	v_mfma_f32_16x16x32_fp8_fp8 v[8:11], a[98:99], a[18:19], v[8:11]// 000000003BF4: D3F30008 1C222562
	v_mfma_f32_16x16x32_fp8_fp8 v[8:11], a[100:101], a[20:21], v[8:11]// 000000003BFC: D3F30008 1C222964
	v_mfma_f32_16x16x32_fp8_fp8 v[8:11], a[102:103], a[22:23], v[8:11]// 000000003C04: D3F30008 1C222D66
	v_fma_f32 v132, v12, v6, v132                              // 000000003C0C: D1CB0084 06120D0C
	v_fma_f32 v133, v13, v6, v133                              // 000000003C14: D1CB0085 06160D0D
	v_fma_f32 v134, v14, v6, v134                              // 000000003C1C: D1CB0086 061A0D0E
	v_fma_f32 v135, v15, v6, v135                              // 000000003C24: D1CB0087 061E0D0F
	s_waitcnt vmcnt(26)                                        // 000000003C2C: BF8C4F7A
	v_mul_f32_dpp v6, v24, v37 row_newbcast:3 row_mask:0xf bank_mask:0xf// 000000003C30: 0A0C4AFA FF015318
	v_mfma_f32_16x16x32_fp8_fp8 v[12:15], a[104:105], a[0:1], 0// 000000003C38: D3F3000C 1A020168
	v_mfma_f32_16x16x32_fp8_fp8 v[12:15], a[106:107], a[2:3], v[12:15]// 000000003C40: D3F3000C 1C32056A
	v_mfma_f32_16x16x32_fp8_fp8 v[12:15], a[108:109], a[4:5], v[12:15]// 000000003C48: D3F3000C 1C32096C
	v_mfma_f32_16x16x32_fp8_fp8 v[12:15], a[110:111], a[6:7], v[12:15]// 000000003C50: D3F3000C 1C320D6E
	v_fma_f32 v136, v8, v4, v136                               // 000000003C58: D1CB0088 06220908
	v_fma_f32 v137, v9, v4, v137                               // 000000003C60: D1CB0089 06260909
	v_fma_f32 v138, v10, v4, v138                              // 000000003C68: D1CB008A 062A090A
	v_fma_f32 v139, v11, v4, v139                              // 000000003C70: D1CB008B 062E090B
	v_mul_f32_dpp v4, v24, v38 row_newbcast:3 row_mask:0xf bank_mask:0xf// 000000003C78: 0A084CFA FF015318
	v_mfma_f32_16x16x32_fp8_fp8 v[8:11], a[104:105], a[8:9], 0 // 000000003C80: D3F30008 1A021168
	v_mfma_f32_16x16x32_fp8_fp8 v[8:11], a[106:107], a[10:11], v[8:11]// 000000003C88: D3F30008 1C22156A
	v_mfma_f32_16x16x32_fp8_fp8 v[8:11], a[108:109], a[12:13], v[8:11]// 000000003C90: D3F30008 1C22196C
	v_mfma_f32_16x16x32_fp8_fp8 v[8:11], a[110:111], a[14:15], v[8:11]// 000000003C98: D3F30008 1C221D6E
	v_fma_f32 v140, v12, v6, v140                              // 000000003CA0: D1CB008C 06320D0C
	v_fma_f32 v141, v13, v6, v141                              // 000000003CA8: D1CB008D 06360D0D
	v_fma_f32 v142, v14, v6, v142                              // 000000003CB0: D1CB008E 063A0D0E
	v_fma_f32 v143, v15, v6, v143                              // 000000003CB8: D1CB008F 063E0D0F
	v_mul_f32_dpp v6, v24, v39 row_newbcast:3 row_mask:0xf bank_mask:0xf// 000000003CC0: 0A0C4EFA FF015318
	v_mfma_f32_16x16x32_fp8_fp8 v[12:15], a[104:105], a[16:17], 0// 000000003CC8: D3F3000C 1A022168
	v_mfma_f32_16x16x32_fp8_fp8 v[12:15], a[106:107], a[18:19], v[12:15]// 000000003CD0: D3F3000C 1C32256A
	s_add_u32 s60, 0x80, s80                                   // 000000003CD8: 803C50FF 00000080
	s_cmp_lt_u32 s60, s81                                      // 000000003CE0: BF0A513C
	s_cselect_b32 s83, s83, 0                                  // 000000003CE4: 85538053
	s_cselect_b32 s4, s4, 0                                    // 000000003CE8: 85048004
	v_mfma_f32_16x16x32_fp8_fp8 v[12:15], a[108:109], a[20:21], v[12:15]// 000000003CEC: D3F3000C 1C32296C
	s_add_u32 s32, s4, s32                                     // 000000003CF4: 80202004
	s_addc_u32 s33, 0, s33                                     // 000000003CF8: 82212180
	v_mfma_f32_16x16x32_fp8_fp8 v[12:15], a[110:111], a[22:23], v[12:15]// 000000003CFC: D3F3000C 1C322D6E
	v_fma_f32 v144, v8, v4, v144                               // 000000003D04: D1CB0090 06420908
	v_fma_f32 v145, v9, v4, v145                               // 000000003D0C: D1CB0091 06460909
	v_fma_f32 v146, v10, v4, v146                              // 000000003D14: D1CB0092 064A090A
	v_fma_f32 v147, v11, v4, v147                              // 000000003D1C: D1CB0093 064E090B
	v_fma_f32 v148, v12, v6, v148                              // 000000003D24: D1CB0094 06520D0C
	v_fma_f32 v149, v13, v6, v149                              // 000000003D2C: D1CB0095 06560D0D
	v_fma_f32 v150, v14, v6, v150                              // 000000003D34: D1CB0096 065A0D0E
	v_fma_f32 v151, v15, v6, v151                              // 000000003D3C: D1CB0097 065E0D0F
	s_waitcnt vmcnt(9)                                         // 000000003D44: BF8C0F79
	v_mul_f32_dpp v4, v27, v37 row_newbcast:0 row_mask:0xf bank_mask:0xf// 000000003D48: 0A084AFA FF01501B
	v_mfma_f32_16x16x32_fp8_fp8 v[8:11], a[112:113], a[0:1], 0 // 000000003D50: D3F30008 1A020170
	buffer_load_dword v24, v22, s[32:35], 0 offen              // 000000003D58: E0501000 80081816
	v_mfma_f32_16x16x32_fp8_fp8 v[8:11], a[114:115], a[2:3], v[8:11]// 000000003D60: D3F30008 1C220572
	buffer_load_dwordx4 a[48:51], v46, s[24:27], 0 offen       // 000000003D68: E05C1000 8086302E
	v_mfma_f32_16x16x32_fp8_fp8 v[8:11], a[116:117], a[4:5], v[8:11]// 000000003D70: D3F30008 1C220974
	v_mfma_f32_16x16x32_fp8_fp8 v[8:11], a[118:119], a[6:7], v[8:11]// 000000003D78: D3F30008 1C220D76
	ds_read_b128 a[24:27], v2 offset:6272                      // 000000003D80: DBFE1880 18000002
	ds_read_b128 a[28:31], v2 offset:6336                      // 000000003D88: DBFE18C0 1C000002
	v_mfma_f32_16x16x32_fp8_fp8 v[12:15], a[120:121], a[0:1], 0// 000000003D90: D3F3000C 1A020178
	v_mfma_f32_16x16x32_fp8_fp8 v[12:15], a[122:123], a[2:3], v[12:15]// 000000003D98: D3F3000C 1C32057A
	buffer_load_dwordx4 a[52:55], v46, s[24:27], 0 offen offset:1024// 000000003DA0: E05C1400 8086342E
	v_mfma_f32_16x16x32_fp8_fp8 v[12:15], a[124:125], a[4:5], v[12:15]// 000000003DA8: D3F3000C 1C32097C
	v_mfma_f32_16x16x32_fp8_fp8 v[12:15], a[126:127], a[6:7], v[12:15]// 000000003DB0: D3F3000C 1C320D7E
	ds_read_b128 a[32:35], v2 offset:6784                      // 000000003DB8: DBFE1A80 20000002
	ds_read_b128 a[36:39], v2 offset:6848                      // 000000003DC0: DBFE1AC0 24000002
	v_fma_f32 v152, v8, v4, v152                               // 000000003DC8: D1CB0098 06620908
	v_fma_f32 v153, v9, v4, v153                               // 000000003DD0: D1CB0099 06660909
	v_fma_f32 v154, v10, v4, v154                              // 000000003DD8: D1CB009A 066A090A
	v_fma_f32 v155, v11, v4, v155                              // 000000003DE0: D1CB009B 066E090B
	v_mul_f32_dpp v6, v27, v37 row_newbcast:1 row_mask:0xf bank_mask:0xf// 000000003DE8: 0A0C4AFA FF01511B
	v_mfma_f32_16x16x32_fp8_fp8 v[8:11], a[128:129], a[0:1], 0 // 000000003DF0: D3F30008 1A020180
	v_mfma_f32_16x16x32_fp8_fp8 v[8:11], a[130:131], a[2:3], v[8:11]// 000000003DF8: D3F30008 1C220582
	buffer_load_dwordx4 a[56:59], v47, s[24:27], 0 offen       // 000000003E00: E05C1000 8086382F
	v_mfma_f32_16x16x32_fp8_fp8 v[8:11], a[132:133], a[4:5], v[8:11]// 000000003E08: D3F30008 1C220984
	v_mfma_f32_16x16x32_fp8_fp8 v[8:11], a[134:135], a[6:7], v[8:11]// 000000003E10: D3F30008 1C220D86
	ds_read_b128 a[40:43], v2 offset:7296                      // 000000003E18: DBFE1C80 28000002
	ds_read_b128 a[44:47], v2 offset:7360                      // 000000003E20: DBFE1CC0 2C000002
	v_fma_f32 v164, v12, v4, v164                              // 000000003E28: D1CB00A4 0692090C
	v_fma_f32 v165, v13, v4, v165                              // 000000003E30: D1CB00A5 0696090D
	v_fma_f32 v166, v14, v4, v166                              // 000000003E38: D1CB00A6 069A090E
	v_fma_f32 v167, v15, v4, v167                              // 000000003E40: D1CB00A7 069E090F
	v_mfma_f32_16x16x32_fp8_fp8 v[12:15], a[136:137], a[0:1], 0// 000000003E48: D3F3000C 1A020188
	v_mfma_f32_16x16x32_fp8_fp8 v[12:15], a[138:139], a[2:3], v[12:15]// 000000003E50: D3F3000C 1C32058A
	buffer_load_dwordx4 a[60:63], v47, s[24:27], 0 offen offset:1024// 000000003E58: E05C1400 80863C2F
	v_mfma_f32_16x16x32_fp8_fp8 v[12:15], a[140:141], a[4:5], v[12:15]// 000000003E60: D3F3000C 1C32098C
	v_mfma_f32_16x16x32_fp8_fp8 v[12:15], a[142:143], a[6:7], v[12:15]// 000000003E68: D3F3000C 1C320D8E
	v_fma_f32 v176, v8, v6, v176                               // 000000003E70: D1CB00B0 06C20D08
	v_fma_f32 v177, v9, v6, v177                               // 000000003E78: D1CB00B1 06C60D09
	v_fma_f32 v178, v10, v6, v178                              // 000000003E80: D1CB00B2 06CA0D0A
	v_fma_f32 v179, v11, v6, v179                              // 000000003E88: D1CB00B3 06CE0D0B
	v_mul_f32_dpp v4, v27, v37 row_newbcast:2 row_mask:0xf bank_mask:0xf// 000000003E90: 0A084AFA FF01521B
	v_mfma_f32_16x16x32_fp8_fp8 v[8:11], a[144:145], a[0:1], 0 // 000000003E98: D3F30008 1A020190
	v_mfma_f32_16x16x32_fp8_fp8 v[8:11], a[146:147], a[2:3], v[8:11]// 000000003EA0: D3F30008 1C220592
	buffer_load_dwordx4 a[64:67], v48, s[24:27], 0 offen       // 000000003EA8: E05C1000 80864030
	v_mfma_f32_16x16x32_fp8_fp8 v[8:11], a[148:149], a[4:5], v[8:11]// 000000003EB0: D3F30008 1C220994
	v_mfma_f32_16x16x32_fp8_fp8 v[8:11], a[150:151], a[6:7], v[8:11]// 000000003EB8: D3F30008 1C220D96
	v_fma_f32 v188, v12, v6, v188                              // 000000003EC0: D1CB00BC 06F20D0C
	v_fma_f32 v189, v13, v6, v189                              // 000000003EC8: D1CB00BD 06F60D0D
	v_fma_f32 v190, v14, v6, v190                              // 000000003ED0: D1CB00BE 06FA0D0E
	v_fma_f32 v191, v15, v6, v191                              // 000000003ED8: D1CB00BF 06FE0D0F
	v_mfma_f32_16x16x32_fp8_fp8 v[12:15], a[152:153], a[0:1], 0// 000000003EE0: D3F3000C 1A020198
	v_mfma_f32_16x16x32_fp8_fp8 v[12:15], a[154:155], a[2:3], v[12:15]// 000000003EE8: D3F3000C 1C32059A
	buffer_load_dwordx4 a[68:71], v48, s[24:27], 0 offen offset:1024// 000000003EF0: E05C1400 80864430
	v_mfma_f32_16x16x32_fp8_fp8 v[12:15], a[156:157], a[4:5], v[12:15]// 000000003EF8: D3F3000C 1C32099C
	v_mfma_f32_16x16x32_fp8_fp8 v[12:15], a[158:159], a[6:7], v[12:15]// 000000003F00: D3F3000C 1C320D9E
	v_fma_f32 v200, v8, v4, v200                               // 000000003F08: D1CB00C8 07220908
	v_fma_f32 v201, v9, v4, v201                               // 000000003F10: D1CB00C9 07260909
	v_fma_f32 v202, v10, v4, v202                              // 000000003F18: D1CB00CA 072A090A
	v_fma_f32 v203, v11, v4, v203                              // 000000003F20: D1CB00CB 072E090B
	v_mul_f32_dpp v6, v27, v37 row_newbcast:3 row_mask:0xf bank_mask:0xf// 000000003F28: 0A0C4AFA FF01531B
	v_mfma_f32_16x16x32_fp8_fp8 v[8:11], a[160:161], a[0:1], 0 // 000000003F30: D3F30008 1A0201A0
	v_mfma_f32_16x16x32_fp8_fp8 v[8:11], a[162:163], a[2:3], v[8:11]// 000000003F38: D3F30008 1C2205A2
	buffer_load_dwordx4 a[72:75], v49, s[24:27], 0 offen       // 000000003F40: E05C1000 80864831
	v_mfma_f32_16x16x32_fp8_fp8 v[8:11], a[164:165], a[4:5], v[8:11]// 000000003F48: D3F30008 1C2209A4
	v_mfma_f32_16x16x32_fp8_fp8 v[8:11], a[166:167], a[6:7], v[8:11]// 000000003F50: D3F30008 1C220DA6
	v_fma_f32 v212, v12, v4, v212                              // 000000003F58: D1CB00D4 0752090C
	v_fma_f32 v213, v13, v4, v213                              // 000000003F60: D1CB00D5 0756090D
	v_fma_f32 v214, v14, v4, v214                              // 000000003F68: D1CB00D6 075A090E
	v_fma_f32 v215, v15, v4, v215                              // 000000003F70: D1CB00D7 075E090F
	v_mfma_f32_16x16x32_fp8_fp8 v[12:15], a[168:169], a[0:1], 0// 000000003F78: D3F3000C 1A0201A8
	v_mfma_f32_16x16x32_fp8_fp8 v[12:15], a[170:171], a[2:3], v[12:15]// 000000003F80: D3F3000C 1C3205AA
	buffer_load_dwordx4 a[76:79], v49, s[24:27], 0 offen offset:1024// 000000003F88: E05C1400 80864C31
	v_mfma_f32_16x16x32_fp8_fp8 v[12:15], a[172:173], a[4:5], v[12:15]// 000000003F90: D3F3000C 1C3209AC
	v_mfma_f32_16x16x32_fp8_fp8 v[12:15], a[174:175], a[6:7], v[12:15]// 000000003F98: D3F3000C 1C320DAE
	v_fma_f32 v224, v8, v6, v224                               // 000000003FA0: D1CB00E0 07820D08
	v_fma_f32 v225, v9, v6, v225                               // 000000003FA8: D1CB00E1 07860D09
	v_fma_f32 v226, v10, v6, v226                              // 000000003FB0: D1CB00E2 078A0D0A
	v_fma_f32 v227, v11, v6, v227                              // 000000003FB8: D1CB00E3 078E0D0B
	v_mul_f32_dpp v4, v27, v38 row_newbcast:0 row_mask:0xf bank_mask:0xf// 000000003FC0: 0A084CFA FF01501B
	v_mfma_f32_16x16x32_fp8_fp8 v[8:11], a[112:113], a[8:9], 0 // 000000003FC8: D3F30008 1A021170
	v_mfma_f32_16x16x32_fp8_fp8 v[8:11], a[114:115], a[10:11], v[8:11]// 000000003FD0: D3F30008 1C221572
	buffer_load_dwordx4 a[80:83], v50, s[24:27], 0 offen       // 000000003FD8: E05C1000 80865032
	v_mfma_f32_16x16x32_fp8_fp8 v[8:11], a[116:117], a[12:13], v[8:11]// 000000003FE0: D3F30008 1C221974
	v_mfma_f32_16x16x32_fp8_fp8 v[8:11], a[118:119], a[14:15], v[8:11]// 000000003FE8: D3F30008 1C221D76
	v_fma_f32 v236, v12, v6, v236                              // 000000003FF0: D1CB00EC 07B20D0C
	v_fma_f32 v237, v13, v6, v237                              // 000000003FF8: D1CB00ED 07B60D0D
	v_fma_f32 v238, v14, v6, v238                              // 000000004000: D1CB00EE 07BA0D0E
	v_fma_f32 v239, v15, v6, v239                              // 000000004008: D1CB00EF 07BE0D0F
	v_mfma_f32_16x16x32_fp8_fp8 v[12:15], a[120:121], a[8:9], 0// 000000004010: D3F3000C 1A021178
	v_mfma_f32_16x16x32_fp8_fp8 v[12:15], a[122:123], a[10:11], v[12:15]// 000000004018: D3F3000C 1C32157A
	buffer_load_dwordx4 a[84:87], v50, s[24:27], 0 offen offset:1024// 000000004020: E05C1400 80865432
	v_mfma_f32_16x16x32_fp8_fp8 v[12:15], a[124:125], a[12:13], v[12:15]// 000000004028: D3F3000C 1C32197C
	v_mfma_f32_16x16x32_fp8_fp8 v[12:15], a[126:127], a[14:15], v[12:15]// 000000004030: D3F3000C 1C321D7E
	v_fma_f32 v156, v8, v4, v156                               // 000000004038: D1CB009C 06720908
	v_fma_f32 v157, v9, v4, v157                               // 000000004040: D1CB009D 06760909
	v_fma_f32 v158, v10, v4, v158                              // 000000004048: D1CB009E 067A090A
	v_fma_f32 v159, v11, v4, v159                              // 000000004050: D1CB009F 067E090B
	v_mul_f32_dpp v6, v27, v38 row_newbcast:1 row_mask:0xf bank_mask:0xf// 000000004058: 0A0C4CFA FF01511B
	v_mfma_f32_16x16x32_fp8_fp8 v[8:11], a[128:129], a[8:9], 0 // 000000004060: D3F30008 1A021180
	v_mfma_f32_16x16x32_fp8_fp8 v[8:11], a[130:131], a[10:11], v[8:11]// 000000004068: D3F30008 1C221582
	buffer_load_dwordx4 a[88:91], v51, s[24:27], 0 offen       // 000000004070: E05C1000 80865833
	v_mfma_f32_16x16x32_fp8_fp8 v[8:11], a[132:133], a[12:13], v[8:11]// 000000004078: D3F30008 1C221984
	v_mfma_f32_16x16x32_fp8_fp8 v[8:11], a[134:135], a[14:15], v[8:11]// 000000004080: D3F30008 1C221D86
	v_fma_f32 v168, v12, v4, v168                              // 000000004088: D1CB00A8 06A2090C
	v_fma_f32 v169, v13, v4, v169                              // 000000004090: D1CB00A9 06A6090D
	v_fma_f32 v170, v14, v4, v170                              // 000000004098: D1CB00AA 06AA090E
	v_fma_f32 v171, v15, v4, v171                              // 0000000040A0: D1CB00AB 06AE090F
	v_mfma_f32_16x16x32_fp8_fp8 v[12:15], a[136:137], a[8:9], 0// 0000000040A8: D3F3000C 1A021188
	v_mfma_f32_16x16x32_fp8_fp8 v[12:15], a[138:139], a[10:11], v[12:15]// 0000000040B0: D3F3000C 1C32158A
	buffer_load_dwordx4 a[92:95], v51, s[24:27], 0 offen offset:1024// 0000000040B8: E05C1400 80865C33
	v_mfma_f32_16x16x32_fp8_fp8 v[12:15], a[140:141], a[12:13], v[12:15]// 0000000040C0: D3F3000C 1C32198C
	v_mfma_f32_16x16x32_fp8_fp8 v[12:15], a[142:143], a[14:15], v[12:15]// 0000000040C8: D3F3000C 1C321D8E
	v_fma_f32 v180, v8, v6, v180                               // 0000000040D0: D1CB00B4 06D20D08
	v_fma_f32 v181, v9, v6, v181                               // 0000000040D8: D1CB00B5 06D60D09
	v_fma_f32 v182, v10, v6, v182                              // 0000000040E0: D1CB00B6 06DA0D0A
	v_fma_f32 v183, v11, v6, v183                              // 0000000040E8: D1CB00B7 06DE0D0B
	v_mul_f32_dpp v4, v27, v38 row_newbcast:2 row_mask:0xf bank_mask:0xf// 0000000040F0: 0A084CFA FF01521B
	v_mfma_f32_16x16x32_fp8_fp8 v[8:11], a[144:145], a[8:9], 0 // 0000000040F8: D3F30008 1A021190
	v_mfma_f32_16x16x32_fp8_fp8 v[8:11], a[146:147], a[10:11], v[8:11]// 000000004100: D3F30008 1C221592
	buffer_load_dwordx4 a[96:99], v52, s[24:27], 0 offen       // 000000004108: E05C1000 80866034
	v_mfma_f32_16x16x32_fp8_fp8 v[8:11], a[148:149], a[12:13], v[8:11]// 000000004110: D3F30008 1C221994
	v_mfma_f32_16x16x32_fp8_fp8 v[8:11], a[150:151], a[14:15], v[8:11]// 000000004118: D3F30008 1C221D96
	v_fma_f32 v192, v12, v6, v192                              // 000000004120: D1CB00C0 07020D0C
	v_fma_f32 v193, v13, v6, v193                              // 000000004128: D1CB00C1 07060D0D
	v_fma_f32 v194, v14, v6, v194                              // 000000004130: D1CB00C2 070A0D0E
	v_fma_f32 v195, v15, v6, v195                              // 000000004138: D1CB00C3 070E0D0F
	v_mfma_f32_16x16x32_fp8_fp8 v[12:15], a[152:153], a[8:9], 0// 000000004140: D3F3000C 1A021198
	v_mfma_f32_16x16x32_fp8_fp8 v[12:15], a[154:155], a[10:11], v[12:15]// 000000004148: D3F3000C 1C32159A
	buffer_load_dwordx4 a[100:103], v52, s[24:27], 0 offen offset:1024// 000000004150: E05C1400 80866434
	v_mfma_f32_16x16x32_fp8_fp8 v[12:15], a[156:157], a[12:13], v[12:15]// 000000004158: D3F3000C 1C32199C
	v_mfma_f32_16x16x32_fp8_fp8 v[12:15], a[158:159], a[14:15], v[12:15]// 000000004160: D3F3000C 1C321D9E
	v_fma_f32 v204, v8, v4, v204                               // 000000004168: D1CB00CC 07320908
	v_fma_f32 v205, v9, v4, v205                               // 000000004170: D1CB00CD 07360909
	v_fma_f32 v206, v10, v4, v206                              // 000000004178: D1CB00CE 073A090A
	v_fma_f32 v207, v11, v4, v207                              // 000000004180: D1CB00CF 073E090B
	v_mul_f32_dpp v6, v27, v38 row_newbcast:3 row_mask:0xf bank_mask:0xf// 000000004188: 0A0C4CFA FF01531B
	v_mfma_f32_16x16x32_fp8_fp8 v[8:11], a[160:161], a[8:9], 0 // 000000004190: D3F30008 1A0211A0
	v_mfma_f32_16x16x32_fp8_fp8 v[8:11], a[162:163], a[10:11], v[8:11]// 000000004198: D3F30008 1C2215A2
	buffer_load_dwordx4 a[104:107], v53, s[24:27], 0 offen     // 0000000041A0: E05C1000 80866835
	v_mfma_f32_16x16x32_fp8_fp8 v[8:11], a[164:165], a[12:13], v[8:11]// 0000000041A8: D3F30008 1C2219A4
	v_mfma_f32_16x16x32_fp8_fp8 v[8:11], a[166:167], a[14:15], v[8:11]// 0000000041B0: D3F30008 1C221DA6
	v_fma_f32 v216, v12, v4, v216                              // 0000000041B8: D1CB00D8 0762090C
	v_fma_f32 v217, v13, v4, v217                              // 0000000041C0: D1CB00D9 0766090D
	v_fma_f32 v218, v14, v4, v218                              // 0000000041C8: D1CB00DA 076A090E
	v_fma_f32 v219, v15, v4, v219                              // 0000000041D0: D1CB00DB 076E090F
	v_mfma_f32_16x16x32_fp8_fp8 v[12:15], a[168:169], a[8:9], 0// 0000000041D8: D3F3000C 1A0211A8
	v_mfma_f32_16x16x32_fp8_fp8 v[12:15], a[170:171], a[10:11], v[12:15]// 0000000041E0: D3F3000C 1C3215AA
	buffer_load_dwordx4 a[108:111], v53, s[24:27], 0 offen offset:1024// 0000000041E8: E05C1400 80866C35
	v_mfma_f32_16x16x32_fp8_fp8 v[12:15], a[172:173], a[12:13], v[12:15]// 0000000041F0: D3F3000C 1C3219AC
	v_mfma_f32_16x16x32_fp8_fp8 v[12:15], a[174:175], a[14:15], v[12:15]// 0000000041F8: D3F3000C 1C321DAE
	v_fma_f32 v228, v8, v6, v228                               // 000000004200: D1CB00E4 07920D08
	v_fma_f32 v229, v9, v6, v229                               // 000000004208: D1CB00E5 07960D09
	v_fma_f32 v230, v10, v6, v230                              // 000000004210: D1CB00E6 079A0D0A
	v_fma_f32 v231, v11, v6, v231                              // 000000004218: D1CB00E7 079E0D0B
	v_mul_f32_dpp v4, v27, v39 row_newbcast:0 row_mask:0xf bank_mask:0xf// 000000004220: 0A084EFA FF01501B
	v_mfma_f32_16x16x32_fp8_fp8 v[8:11], a[112:113], a[16:17], 0// 000000004228: D3F30008 1A022170
	v_mfma_f32_16x16x32_fp8_fp8 v[8:11], a[114:115], a[18:19], v[8:11]// 000000004230: D3F30008 1C222572
	v_mfma_f32_16x16x32_fp8_fp8 v[8:11], a[116:117], a[20:21], v[8:11]// 000000004238: D3F30008 1C222974
	v_mfma_f32_16x16x32_fp8_fp8 v[8:11], a[118:119], a[22:23], v[8:11]// 000000004240: D3F30008 1C222D76
	v_fma_f32 v240, v12, v6, v240                              // 000000004248: D1CB00F0 07C20D0C
	v_fma_f32 v241, v13, v6, v241                              // 000000004250: D1CB00F1 07C60D0D
	v_fma_f32 v242, v14, v6, v242                              // 000000004258: D1CB00F2 07CA0D0E
	v_fma_f32 v243, v15, v6, v243                              // 000000004260: D1CB00F3 07CE0D0F
	v_mfma_f32_16x16x32_fp8_fp8 v[12:15], a[120:121], a[16:17], 0// 000000004268: D3F3000C 1A022178
	v_mfma_f32_16x16x32_fp8_fp8 v[12:15], a[122:123], a[18:19], v[12:15]// 000000004270: D3F3000C 1C32257A
	v_mfma_f32_16x16x32_fp8_fp8 v[12:15], a[124:125], a[20:21], v[12:15]// 000000004278: D3F3000C 1C32297C
	v_mfma_f32_16x16x32_fp8_fp8 v[12:15], a[126:127], a[22:23], v[12:15]// 000000004280: D3F3000C 1C322D7E
	v_fma_f32 v160, v8, v4, v160                               // 000000004288: D1CB00A0 06820908
	v_fma_f32 v161, v9, v4, v161                               // 000000004290: D1CB00A1 06860909
	v_fma_f32 v162, v10, v4, v162                              // 000000004298: D1CB00A2 068A090A
	v_fma_f32 v163, v11, v4, v163                              // 0000000042A0: D1CB00A3 068E090B
	v_mul_f32_dpp v6, v27, v39 row_newbcast:1 row_mask:0xf bank_mask:0xf// 0000000042A8: 0A0C4EFA FF01511B
	v_mfma_f32_16x16x32_fp8_fp8 v[8:11], a[128:129], a[16:17], 0// 0000000042B0: D3F30008 1A022180
	v_mfma_f32_16x16x32_fp8_fp8 v[8:11], a[130:131], a[18:19], v[8:11]// 0000000042B8: D3F30008 1C222582
	v_mfma_f32_16x16x32_fp8_fp8 v[8:11], a[132:133], a[20:21], v[8:11]// 0000000042C0: D3F30008 1C222984
	v_mfma_f32_16x16x32_fp8_fp8 v[8:11], a[134:135], a[22:23], v[8:11]// 0000000042C8: D3F30008 1C222D86
	v_fma_f32 v172, v12, v4, v172                              // 0000000042D0: D1CB00AC 06B2090C
	v_fma_f32 v173, v13, v4, v173                              // 0000000042D8: D1CB00AD 06B6090D
	v_fma_f32 v174, v14, v4, v174                              // 0000000042E0: D1CB00AE 06BA090E
	v_fma_f32 v175, v15, v4, v175                              // 0000000042E8: D1CB00AF 06BE090F
	v_mfma_f32_16x16x32_fp8_fp8 v[12:15], a[136:137], a[16:17], 0// 0000000042F0: D3F3000C 1A022188
	v_mfma_f32_16x16x32_fp8_fp8 v[12:15], a[138:139], a[18:19], v[12:15]// 0000000042F8: D3F3000C 1C32258A
	v_mfma_f32_16x16x32_fp8_fp8 v[12:15], a[140:141], a[20:21], v[12:15]// 000000004300: D3F3000C 1C32298C
	v_mfma_f32_16x16x32_fp8_fp8 v[12:15], a[142:143], a[22:23], v[12:15]// 000000004308: D3F3000C 1C322D8E
	v_fma_f32 v184, v8, v6, v184                               // 000000004310: D1CB00B8 06E20D08
	v_fma_f32 v185, v9, v6, v185                               // 000000004318: D1CB00B9 06E60D09
	v_fma_f32 v186, v10, v6, v186                              // 000000004320: D1CB00BA 06EA0D0A
	v_fma_f32 v187, v11, v6, v187                              // 000000004328: D1CB00BB 06EE0D0B
	v_mul_f32_dpp v4, v27, v39 row_newbcast:2 row_mask:0xf bank_mask:0xf// 000000004330: 0A084EFA FF01521B
	v_mfma_f32_16x16x32_fp8_fp8 v[8:11], a[144:145], a[16:17], 0// 000000004338: D3F30008 1A022190
	v_mfma_f32_16x16x32_fp8_fp8 v[8:11], a[146:147], a[18:19], v[8:11]// 000000004340: D3F30008 1C222592
	v_mfma_f32_16x16x32_fp8_fp8 v[8:11], a[148:149], a[20:21], v[8:11]// 000000004348: D3F30008 1C222994
	v_mfma_f32_16x16x32_fp8_fp8 v[8:11], a[150:151], a[22:23], v[8:11]// 000000004350: D3F30008 1C222D96
	v_fma_f32 v196, v12, v6, v196                              // 000000004358: D1CB00C4 07120D0C
	v_fma_f32 v197, v13, v6, v197                              // 000000004360: D1CB00C5 07160D0D
	v_fma_f32 v198, v14, v6, v198                              // 000000004368: D1CB00C6 071A0D0E
	v_fma_f32 v199, v15, v6, v199                              // 000000004370: D1CB00C7 071E0D0F
	v_mfma_f32_16x16x32_fp8_fp8 v[12:15], a[152:153], a[16:17], 0// 000000004378: D3F3000C 1A022198
	v_mfma_f32_16x16x32_fp8_fp8 v[12:15], a[154:155], a[18:19], v[12:15]// 000000004380: D3F3000C 1C32259A
	v_mfma_f32_16x16x32_fp8_fp8 v[12:15], a[156:157], a[20:21], v[12:15]// 000000004388: D3F3000C 1C32299C
	v_mfma_f32_16x16x32_fp8_fp8 v[12:15], a[158:159], a[22:23], v[12:15]// 000000004390: D3F3000C 1C322D9E
	v_fma_f32 v208, v8, v4, v208                               // 000000004398: D1CB00D0 07420908
	v_fma_f32 v209, v9, v4, v209                               // 0000000043A0: D1CB00D1 07460909
	v_fma_f32 v210, v10, v4, v210                              // 0000000043A8: D1CB00D2 074A090A
	v_fma_f32 v211, v11, v4, v211                              // 0000000043B0: D1CB00D3 074E090B
	v_mul_f32_dpp v6, v27, v39 row_newbcast:3 row_mask:0xf bank_mask:0xf// 0000000043B8: 0A0C4EFA FF01531B
	v_mfma_f32_16x16x32_fp8_fp8 v[8:11], a[160:161], a[16:17], 0// 0000000043C0: D3F30008 1A0221A0
	v_mfma_f32_16x16x32_fp8_fp8 v[8:11], a[162:163], a[18:19], v[8:11]// 0000000043C8: D3F30008 1C2225A2
	v_mfma_f32_16x16x32_fp8_fp8 v[8:11], a[164:165], a[20:21], v[8:11]// 0000000043D0: D3F30008 1C2229A4
	s_add_u32 s60, 0x180, s80                                  // 0000000043D8: 803C50FF 00000180
	s_cmp_lt_u32 s60, s81                                      // 0000000043E0: BF0A513C
	s_cselect_b32 s57, s57, 0                                  // 0000000043E4: 85398039
	s_cselect_b32 s3, s3, 0                                    // 0000000043E8: 85038003
	v_mfma_f32_16x16x32_fp8_fp8 v[8:11], a[166:167], a[22:23], v[8:11]// 0000000043EC: D3F30008 1C222DA6
	s_add_u32 s60, 0x100, s80                                  // 0000000043F4: 803C50FF 00000100
	s_cmp_lt_u32 s60, s81                                      // 0000000043FC: BF0A513C
	s_cselect_b32 s58, s58, 0                                  // 000000004400: 853A803A
	v_fma_f32 v220, v12, v4, v220                              // 000000004404: D1CB00DC 0772090C
	v_fma_f32 v221, v13, v4, v221                              // 00000000440C: D1CB00DD 0776090D
	v_fma_f32 v222, v14, v4, v222                              // 000000004414: D1CB00DE 077A090E
	v_fma_f32 v223, v15, v4, v223                              // 00000000441C: D1CB00DF 077E090F
	v_mfma_f32_16x16x32_fp8_fp8 v[12:15], a[168:169], a[16:17], 0// 000000004424: D3F3000C 1A0221A8
	s_add_u32 s24, s58, s24                                    // 00000000442C: 8018183A
	s_addc_u32 s25, 0, s25                                     // 000000004430: 82191980
	v_mfma_f32_16x16x32_fp8_fp8 v[12:15], a[170:171], a[18:19], v[12:15]// 000000004434: D3F3000C 1C3225AA
	s_add_u32 s20, s57, s20                                    // 00000000443C: 80141439
	s_addc_u32 s21, 0, s21                                     // 000000004440: 82151580
	s_add_u32 s28, s3, s28                                     // 000000004444: 801C1C03
	s_addc_u32 s29, 0, s29                                     // 000000004448: 821D1D80
	v_mfma_f32_16x16x32_fp8_fp8 v[12:15], a[172:173], a[20:21], v[12:15]// 00000000444C: D3F3000C 1C3229AC
	s_add_u32 s84, s83, s84                                    // 000000004454: 80545453
	s_addc_u32 s85, 0, s85                                     // 000000004458: 82555580
	v_mfma_f32_16x16x32_fp8_fp8 v[12:15], a[174:175], a[22:23], v[12:15]// 00000000445C: D3F3000C 1C322DAE
	v_fma_f32 v232, v8, v6, v232                               // 000000004464: D1CB00E8 07A20D08
	v_fma_f32 v233, v9, v6, v233                               // 00000000446C: D1CB00E9 07A60D09
	v_fma_f32 v234, v10, v6, v234                              // 000000004474: D1CB00EA 07AA0D0A
	v_fma_f32 v235, v11, v6, v235                              // 00000000447C: D1CB00EB 07AE0D0B
	v_fma_f32 v244, v12, v6, v244                              // 000000004484: D1CB00F4 07D20D0C
	v_fma_f32 v245, v13, v6, v245                              // 00000000448C: D1CB00F5 07D60D0D
	v_fma_f32 v246, v14, v6, v246                              // 000000004494: D1CB00F6 07DA0D0E
	v_fma_f32 v247, v15, v6, v247                              // 00000000449C: D1CB00F7 07DE0D0F
	s_addk_i32 s80, 0x80                                       // 0000000044A4: B7500080
	s_cmp_lt_i32 s80, s81                                      // 0000000044A8: BF045150
	s_cbranch_scc0 label_0A8A                                  // 0000000044AC: BF8403DE
	s_waitcnt vmcnt(14) lgkmcnt(0)                             // 0000000044B0: BF8C007E
	s_barrier                                                  // 0000000044B4: BF8A0000
	v_mov_b32_e32 v37, v34                                     // 0000000044B8: 7E4A0322
	v_mov_b32_e32 v38, v35                                     // 0000000044BC: 7E4C0323
	v_mov_b32_e32 v39, v36                                     // 0000000044C0: 7E4E0324
	v_mul_f32_dpp v4, v24, v37 row_newbcast:0 row_mask:0xf bank_mask:0xf// 0000000044C4: 0A084AFA FF015018
	v_mfma_f32_16x16x32_fp8_fp8 v[8:11], a[48:49], a[24:25], 0 // 0000000044CC: D3F30008 1A023130
	buffer_load_dword v27, v23, s[32:35], 0 offen              // 0000000044D4: E0501000 80081B17
	v_mfma_f32_16x16x32_fp8_fp8 v[8:11], a[50:51], a[26:27], v[8:11]// 0000000044DC: D3F30008 1C223532
	buffer_load_dwordx4 a[112:115], v46, s[84:87], 0 offen     // 0000000044E4: E05C1000 8095702E
	v_mfma_f32_16x16x32_fp8_fp8 v[8:11], a[52:53], a[28:29], v[8:11]// 0000000044EC: D3F30008 1C223934
	v_mfma_f32_16x16x32_fp8_fp8 v[8:11], a[54:55], a[30:31], v[8:11]// 0000000044F4: D3F30008 1C223D36
	v_mul_f32_dpp v6, v24, v38 row_newbcast:0 row_mask:0xf bank_mask:0xf// 0000000044FC: 0A0C4CFA FF015018
	v_mfma_f32_16x16x32_fp8_fp8 v[12:15], a[48:49], a[32:33], 0// 000000004504: D3F3000C 1A024130
	v_mfma_f32_16x16x32_fp8_fp8 v[12:15], a[50:51], a[34:35], v[12:15]// 00000000450C: D3F3000C 1C324532
	buffer_load_dwordx4 a[116:119], v46, s[84:87], 0 offen offset:1024// 000000004514: E05C1400 8095742E
	v_mfma_f32_16x16x32_fp8_fp8 v[12:15], a[52:53], a[36:37], v[12:15]// 00000000451C: D3F3000C 1C324934
	v_mfma_f32_16x16x32_fp8_fp8 v[12:15], a[54:55], a[38:39], v[12:15]// 000000004524: D3F3000C 1C324D36
	v_fma_f32 v56, v8, v4, v56                                 // 00000000452C: D1CB0038 04E20908
	v_fma_f32 v57, v9, v4, v57                                 // 000000004534: D1CB0039 04E60909
	v_fma_f32 v58, v10, v4, v58                                // 00000000453C: D1CB003A 04EA090A
	v_fma_f32 v59, v11, v4, v59                                // 000000004544: D1CB003B 04EE090B
	v_mul_f32_dpp v4, v24, v39 row_newbcast:0 row_mask:0xf bank_mask:0xf// 00000000454C: 0A084EFA FF015018
	v_mfma_f32_16x16x32_fp8_fp8 v[8:11], a[48:49], a[40:41], 0 // 000000004554: D3F30008 1A025130
	v_mfma_f32_16x16x32_fp8_fp8 v[8:11], a[50:51], a[42:43], v[8:11]// 00000000455C: D3F30008 1C225532
	buffer_load_dwordx4 a[120:123], v47, s[84:87], 0 offen     // 000000004564: E05C1000 8095782F
	v_mfma_f32_16x16x32_fp8_fp8 v[8:11], a[52:53], a[44:45], v[8:11]// 00000000456C: D3F30008 1C225934
	v_mfma_f32_16x16x32_fp8_fp8 v[8:11], a[54:55], a[46:47], v[8:11]// 000000004574: D3F30008 1C225D36
	v_fma_f32 v60, v12, v6, v60                                // 00000000457C: D1CB003C 04F20D0C
	v_fma_f32 v61, v13, v6, v61                                // 000000004584: D1CB003D 04F60D0D
	v_fma_f32 v62, v14, v6, v62                                // 00000000458C: D1CB003E 04FA0D0E
	v_fma_f32 v63, v15, v6, v63                                // 000000004594: D1CB003F 04FE0D0F
	s_waitcnt vmcnt(16)                                        // 00000000459C: BF8C4F70
	v_mul_f32_dpp v6, v24, v37 row_newbcast:0 row_mask:0xf bank_mask:0xf// 0000000045A0: 0A0C4AFA FF015018
	v_mfma_f32_16x16x32_fp8_fp8 v[12:15], a[56:57], a[24:25], 0// 0000000045A8: D3F3000C 1A023138
	v_mfma_f32_16x16x32_fp8_fp8 v[12:15], a[58:59], a[26:27], v[12:15]// 0000000045B0: D3F3000C 1C32353A
	buffer_load_dwordx4 a[124:127], v47, s[84:87], 0 offen offset:1024// 0000000045B8: E05C1400 80957C2F
	v_mfma_f32_16x16x32_fp8_fp8 v[12:15], a[60:61], a[28:29], v[12:15]// 0000000045C0: D3F3000C 1C32393C
	v_mfma_f32_16x16x32_fp8_fp8 v[12:15], a[62:63], a[30:31], v[12:15]// 0000000045C8: D3F3000C 1C323D3E
	v_fma_f32 v64, v8, v4, v64                                 // 0000000045D0: D1CB0040 05020908
	v_fma_f32 v65, v9, v4, v65                                 // 0000000045D8: D1CB0041 05060909
	v_fma_f32 v66, v10, v4, v66                                // 0000000045E0: D1CB0042 050A090A
	v_fma_f32 v67, v11, v4, v67                                // 0000000045E8: D1CB0043 050E090B
	v_mul_f32_dpp v4, v24, v38 row_newbcast:0 row_mask:0xf bank_mask:0xf// 0000000045F0: 0A084CFA FF015018
	v_mfma_f32_16x16x32_fp8_fp8 v[8:11], a[56:57], a[32:33], 0 // 0000000045F8: D3F30008 1A024138
	v_mfma_f32_16x16x32_fp8_fp8 v[8:11], a[58:59], a[34:35], v[8:11]// 000000004600: D3F30008 1C22453A
	buffer_load_dwordx4 a[128:131], v48, s[84:87], 0 offen     // 000000004608: E05C1000 80958030
	v_mfma_f32_16x16x32_fp8_fp8 v[8:11], a[60:61], a[36:37], v[8:11]// 000000004610: D3F30008 1C22493C
	v_mfma_f32_16x16x32_fp8_fp8 v[8:11], a[62:63], a[38:39], v[8:11]// 000000004618: D3F30008 1C224D3E
	v_fma_f32 v68, v12, v6, v68                                // 000000004620: D1CB0044 05120D0C
	v_fma_f32 v69, v13, v6, v69                                // 000000004628: D1CB0045 05160D0D
	v_fma_f32 v70, v14, v6, v70                                // 000000004630: D1CB0046 051A0D0E
	v_fma_f32 v71, v15, v6, v71                                // 000000004638: D1CB0047 051E0D0F
	v_mul_f32_dpp v6, v24, v39 row_newbcast:0 row_mask:0xf bank_mask:0xf// 000000004640: 0A0C4EFA FF015018
	v_mfma_f32_16x16x32_fp8_fp8 v[12:15], a[56:57], a[40:41], 0// 000000004648: D3F3000C 1A025138
	v_mfma_f32_16x16x32_fp8_fp8 v[12:15], a[58:59], a[42:43], v[12:15]// 000000004650: D3F3000C 1C32553A
	buffer_load_dwordx4 a[132:135], v48, s[84:87], 0 offen offset:1024// 000000004658: E05C1400 80958430
	v_mfma_f32_16x16x32_fp8_fp8 v[12:15], a[60:61], a[44:45], v[12:15]// 000000004660: D3F3000C 1C32593C
	v_mfma_f32_16x16x32_fp8_fp8 v[12:15], a[62:63], a[46:47], v[12:15]// 000000004668: D3F3000C 1C325D3E
	v_fma_f32 v72, v8, v4, v72                                 // 000000004670: D1CB0048 05220908
	v_fma_f32 v73, v9, v4, v73                                 // 000000004678: D1CB0049 05260909
	v_fma_f32 v74, v10, v4, v74                                // 000000004680: D1CB004A 052A090A
	v_fma_f32 v75, v11, v4, v75                                // 000000004688: D1CB004B 052E090B
	s_waitcnt vmcnt(17)                                        // 000000004690: BF8C4F71
	v_mul_f32_dpp v4, v24, v37 row_newbcast:1 row_mask:0xf bank_mask:0xf// 000000004694: 0A084AFA FF015118
	v_mfma_f32_16x16x32_fp8_fp8 v[8:11], a[64:65], a[24:25], 0 // 00000000469C: D3F30008 1A023140
	v_mfma_f32_16x16x32_fp8_fp8 v[8:11], a[66:67], a[26:27], v[8:11]// 0000000046A4: D3F30008 1C223542
	buffer_load_dwordx4 a[136:139], v49, s[84:87], 0 offen     // 0000000046AC: E05C1000 80958831
	v_mfma_f32_16x16x32_fp8_fp8 v[8:11], a[68:69], a[28:29], v[8:11]// 0000000046B4: D3F30008 1C223944
	v_mfma_f32_16x16x32_fp8_fp8 v[8:11], a[70:71], a[30:31], v[8:11]// 0000000046BC: D3F30008 1C223D46
	v_fma_f32 v76, v12, v6, v76                                // 0000000046C4: D1CB004C 05320D0C
	v_fma_f32 v77, v13, v6, v77                                // 0000000046CC: D1CB004D 05360D0D
	v_fma_f32 v78, v14, v6, v78                                // 0000000046D4: D1CB004E 053A0D0E
	v_fma_f32 v79, v15, v6, v79                                // 0000000046DC: D1CB004F 053E0D0F
	v_mul_f32_dpp v6, v24, v38 row_newbcast:1 row_mask:0xf bank_mask:0xf// 0000000046E4: 0A0C4CFA FF015118
	v_mfma_f32_16x16x32_fp8_fp8 v[12:15], a[64:65], a[32:33], 0// 0000000046EC: D3F3000C 1A024140
	v_mfma_f32_16x16x32_fp8_fp8 v[12:15], a[66:67], a[34:35], v[12:15]// 0000000046F4: D3F3000C 1C324542
	buffer_load_dwordx4 a[140:143], v49, s[84:87], 0 offen offset:1024// 0000000046FC: E05C1400 80958C31
	v_mfma_f32_16x16x32_fp8_fp8 v[12:15], a[68:69], a[36:37], v[12:15]// 000000004704: D3F3000C 1C324944
	v_mfma_f32_16x16x32_fp8_fp8 v[12:15], a[70:71], a[38:39], v[12:15]// 00000000470C: D3F3000C 1C324D46
	v_fma_f32 v80, v8, v4, v80                                 // 000000004714: D1CB0050 05420908
	v_fma_f32 v81, v9, v4, v81                                 // 00000000471C: D1CB0051 05460909
	v_fma_f32 v82, v10, v4, v82                                // 000000004724: D1CB0052 054A090A
	v_fma_f32 v83, v11, v4, v83                                // 00000000472C: D1CB0053 054E090B
	v_mul_f32_dpp v4, v24, v39 row_newbcast:1 row_mask:0xf bank_mask:0xf// 000000004734: 0A084EFA FF015118
	v_mfma_f32_16x16x32_fp8_fp8 v[8:11], a[64:65], a[40:41], 0 // 00000000473C: D3F30008 1A025140
	v_mfma_f32_16x16x32_fp8_fp8 v[8:11], a[66:67], a[42:43], v[8:11]// 000000004744: D3F30008 1C225542
	buffer_load_dwordx4 a[144:147], v50, s[84:87], 0 offen     // 00000000474C: E05C1000 80959032
	v_mfma_f32_16x16x32_fp8_fp8 v[8:11], a[68:69], a[44:45], v[8:11]// 000000004754: D3F30008 1C225944
	v_mfma_f32_16x16x32_fp8_fp8 v[8:11], a[70:71], a[46:47], v[8:11]// 00000000475C: D3F30008 1C225D46
	v_fma_f32 v84, v12, v6, v84                                // 000000004764: D1CB0054 05520D0C
	v_fma_f32 v85, v13, v6, v85                                // 00000000476C: D1CB0055 05560D0D
	v_fma_f32 v86, v14, v6, v86                                // 000000004774: D1CB0056 055A0D0E
	v_fma_f32 v87, v15, v6, v87                                // 00000000477C: D1CB0057 055E0D0F
	s_waitcnt vmcnt(18)                                        // 000000004784: BF8C4F72
	v_mul_f32_dpp v6, v24, v37 row_newbcast:1 row_mask:0xf bank_mask:0xf// 000000004788: 0A0C4AFA FF015118
	v_mfma_f32_16x16x32_fp8_fp8 v[12:15], a[72:73], a[24:25], 0// 000000004790: D3F3000C 1A023148
	v_mfma_f32_16x16x32_fp8_fp8 v[12:15], a[74:75], a[26:27], v[12:15]// 000000004798: D3F3000C 1C32354A
	buffer_load_dwordx4 a[148:151], v50, s[84:87], 0 offen offset:1024// 0000000047A0: E05C1400 80959432
	v_mfma_f32_16x16x32_fp8_fp8 v[12:15], a[76:77], a[28:29], v[12:15]// 0000000047A8: D3F3000C 1C32394C
	v_mfma_f32_16x16x32_fp8_fp8 v[12:15], a[78:79], a[30:31], v[12:15]// 0000000047B0: D3F3000C 1C323D4E
	v_fma_f32 v88, v8, v4, v88                                 // 0000000047B8: D1CB0058 05620908
	v_fma_f32 v89, v9, v4, v89                                 // 0000000047C0: D1CB0059 05660909
	v_fma_f32 v90, v10, v4, v90                                // 0000000047C8: D1CB005A 056A090A
	v_fma_f32 v91, v11, v4, v91                                // 0000000047D0: D1CB005B 056E090B
	v_mul_f32_dpp v4, v24, v38 row_newbcast:1 row_mask:0xf bank_mask:0xf// 0000000047D8: 0A084CFA FF015118
	v_mfma_f32_16x16x32_fp8_fp8 v[8:11], a[72:73], a[32:33], 0 // 0000000047E0: D3F30008 1A024148
	v_mfma_f32_16x16x32_fp8_fp8 v[8:11], a[74:75], a[34:35], v[8:11]// 0000000047E8: D3F30008 1C22454A
	buffer_load_dwordx4 a[152:155], v51, s[84:87], 0 offen     // 0000000047F0: E05C1000 80959833
	v_mfma_f32_16x16x32_fp8_fp8 v[8:11], a[76:77], a[36:37], v[8:11]// 0000000047F8: D3F30008 1C22494C
	v_mfma_f32_16x16x32_fp8_fp8 v[8:11], a[78:79], a[38:39], v[8:11]// 000000004800: D3F30008 1C224D4E
	v_fma_f32 v92, v12, v6, v92                                // 000000004808: D1CB005C 05720D0C
	v_fma_f32 v93, v13, v6, v93                                // 000000004810: D1CB005D 05760D0D
	v_fma_f32 v94, v14, v6, v94                                // 000000004818: D1CB005E 057A0D0E
	v_fma_f32 v95, v15, v6, v95                                // 000000004820: D1CB005F 057E0D0F
	v_mul_f32_dpp v6, v24, v39 row_newbcast:1 row_mask:0xf bank_mask:0xf// 000000004828: 0A0C4EFA FF015118
	v_mfma_f32_16x16x32_fp8_fp8 v[12:15], a[72:73], a[40:41], 0// 000000004830: D3F3000C 1A025148
	v_mfma_f32_16x16x32_fp8_fp8 v[12:15], a[74:75], a[42:43], v[12:15]// 000000004838: D3F3000C 1C32554A
	buffer_load_dwordx4 a[156:159], v51, s[84:87], 0 offen offset:1024// 000000004840: E05C1400 80959C33
	v_mfma_f32_16x16x32_fp8_fp8 v[12:15], a[76:77], a[44:45], v[12:15]// 000000004848: D3F3000C 1C32594C
	v_mfma_f32_16x16x32_fp8_fp8 v[12:15], a[78:79], a[46:47], v[12:15]// 000000004850: D3F3000C 1C325D4E
	v_fma_f32 v96, v8, v4, v96                                 // 000000004858: D1CB0060 05820908
	v_fma_f32 v97, v9, v4, v97                                 // 000000004860: D1CB0061 05860909
	v_fma_f32 v98, v10, v4, v98                                // 000000004868: D1CB0062 058A090A
	v_fma_f32 v99, v11, v4, v99                                // 000000004870: D1CB0063 058E090B
	s_waitcnt vmcnt(19)                                        // 000000004878: BF8C4F73
	v_mul_f32_dpp v4, v24, v37 row_newbcast:2 row_mask:0xf bank_mask:0xf// 00000000487C: 0A084AFA FF015218
	v_mfma_f32_16x16x32_fp8_fp8 v[8:11], a[80:81], a[24:25], 0 // 000000004884: D3F30008 1A023150
	v_mfma_f32_16x16x32_fp8_fp8 v[8:11], a[82:83], a[26:27], v[8:11]// 00000000488C: D3F30008 1C223552
	buffer_load_dwordx4 a[160:163], v52, s[84:87], 0 offen     // 000000004894: E05C1000 8095A034
	v_mfma_f32_16x16x32_fp8_fp8 v[8:11], a[84:85], a[28:29], v[8:11]// 00000000489C: D3F30008 1C223954
	v_mfma_f32_16x16x32_fp8_fp8 v[8:11], a[86:87], a[30:31], v[8:11]// 0000000048A4: D3F30008 1C223D56
	v_fma_f32 v100, v12, v6, v100                              // 0000000048AC: D1CB0064 05920D0C
	v_fma_f32 v101, v13, v6, v101                              // 0000000048B4: D1CB0065 05960D0D
	v_fma_f32 v102, v14, v6, v102                              // 0000000048BC: D1CB0066 059A0D0E
	v_fma_f32 v103, v15, v6, v103                              // 0000000048C4: D1CB0067 059E0D0F
	v_mul_f32_dpp v6, v24, v38 row_newbcast:2 row_mask:0xf bank_mask:0xf// 0000000048CC: 0A0C4CFA FF015218
	v_mfma_f32_16x16x32_fp8_fp8 v[12:15], a[80:81], a[32:33], 0// 0000000048D4: D3F3000C 1A024150
	v_mfma_f32_16x16x32_fp8_fp8 v[12:15], a[82:83], a[34:35], v[12:15]// 0000000048DC: D3F3000C 1C324552
	buffer_load_dwordx4 a[164:167], v52, s[84:87], 0 offen offset:1024// 0000000048E4: E05C1400 8095A434
	v_mfma_f32_16x16x32_fp8_fp8 v[12:15], a[84:85], a[36:37], v[12:15]// 0000000048EC: D3F3000C 1C324954
	v_mfma_f32_16x16x32_fp8_fp8 v[12:15], a[86:87], a[38:39], v[12:15]// 0000000048F4: D3F3000C 1C324D56
	v_fma_f32 v104, v8, v4, v104                               // 0000000048FC: D1CB0068 05A20908
	v_fma_f32 v105, v9, v4, v105                               // 000000004904: D1CB0069 05A60909
	v_fma_f32 v106, v10, v4, v106                              // 00000000490C: D1CB006A 05AA090A
	v_fma_f32 v107, v11, v4, v107                              // 000000004914: D1CB006B 05AE090B
	v_mul_f32_dpp v4, v24, v39 row_newbcast:2 row_mask:0xf bank_mask:0xf// 00000000491C: 0A084EFA FF015218
	v_mfma_f32_16x16x32_fp8_fp8 v[8:11], a[80:81], a[40:41], 0 // 000000004924: D3F30008 1A025150
	v_mfma_f32_16x16x32_fp8_fp8 v[8:11], a[82:83], a[42:43], v[8:11]// 00000000492C: D3F30008 1C225552
	buffer_load_dwordx4 a[168:171], v53, s[84:87], 0 offen     // 000000004934: E05C1000 8095A835
	v_mfma_f32_16x16x32_fp8_fp8 v[8:11], a[84:85], a[44:45], v[8:11]// 00000000493C: D3F30008 1C225954
	v_mfma_f32_16x16x32_fp8_fp8 v[8:11], a[86:87], a[46:47], v[8:11]// 000000004944: D3F30008 1C225D56
	v_fma_f32 v108, v12, v6, v108                              // 00000000494C: D1CB006C 05B20D0C
	v_fma_f32 v109, v13, v6, v109                              // 000000004954: D1CB006D 05B60D0D
	v_fma_f32 v110, v14, v6, v110                              // 00000000495C: D1CB006E 05BA0D0E
	v_fma_f32 v111, v15, v6, v111                              // 000000004964: D1CB006F 05BE0D0F
	s_waitcnt vmcnt(20)                                        // 00000000496C: BF8C4F74
	v_mul_f32_dpp v6, v24, v37 row_newbcast:2 row_mask:0xf bank_mask:0xf// 000000004970: 0A0C4AFA FF015218
	v_mfma_f32_16x16x32_fp8_fp8 v[12:15], a[88:89], a[24:25], 0// 000000004978: D3F3000C 1A023158
	v_mfma_f32_16x16x32_fp8_fp8 v[12:15], a[90:91], a[26:27], v[12:15]// 000000004980: D3F3000C 1C32355A
	buffer_load_dwordx4 a[172:175], v53, s[84:87], 0 offen offset:1024// 000000004988: E05C1400 8095AC35
	buffer_load_dword v40, s[20:23], 0 offen lds               // 000000004990: E0511000 80050028
	s_add_u32 m0, 0x100, s49                                   // 000000004998: 807C31FF 00000100
	v_mfma_f32_16x16x32_fp8_fp8 v[12:15], a[92:93], a[28:29], v[12:15]// 0000000049A0: D3F3000C 1C32395C
	v_mfma_f32_16x16x32_fp8_fp8 v[12:15], a[94:95], a[30:31], v[12:15]// 0000000049A8: D3F3000C 1C323D5E
	buffer_load_dword v41, s[20:23], 0 offen lds               // 0000000049B0: E0511000 80050029
	s_add_u32 m0, 0x200, s49                                   // 0000000049B8: 807C31FF 00000200
	v_fma_f32 v112, v8, v4, v112                               // 0000000049C0: D1CB0070 05C20908
	v_fma_f32 v113, v9, v4, v113                               // 0000000049C8: D1CB0071 05C60909
	v_fma_f32 v114, v10, v4, v114                              // 0000000049D0: D1CB0072 05CA090A
	v_fma_f32 v115, v11, v4, v115                              // 0000000049D8: D1CB0073 05CE090B
	v_mul_f32_dpp v4, v24, v38 row_newbcast:2 row_mask:0xf bank_mask:0xf// 0000000049E0: 0A084CFA FF015218
	v_mfma_f32_16x16x32_fp8_fp8 v[8:11], a[88:89], a[32:33], 0 // 0000000049E8: D3F30008 1A024158
	v_mfma_f32_16x16x32_fp8_fp8 v[8:11], a[90:91], a[34:35], v[8:11]// 0000000049F0: D3F30008 1C22455A
	buffer_load_dword v42, s[20:23], 0 offen lds               // 0000000049F8: E0511000 8005002A
	s_add_u32 m0, 0x300, s49                                   // 000000004A00: 807C31FF 00000300
	v_mfma_f32_16x16x32_fp8_fp8 v[8:11], a[92:93], a[36:37], v[8:11]// 000000004A08: D3F30008 1C22495C
	v_mfma_f32_16x16x32_fp8_fp8 v[8:11], a[94:95], a[38:39], v[8:11]// 000000004A10: D3F30008 1C224D5E
	buffer_load_dword v43, s[20:23], 0 offen lds               // 000000004A18: E0511000 8005002B
	s_add_u32 m0, 0x400, s49                                   // 000000004A20: 807C31FF 00000400
	v_fma_f32 v116, v12, v6, v116                              // 000000004A28: D1CB0074 05D20D0C
	v_fma_f32 v117, v13, v6, v117                              // 000000004A30: D1CB0075 05D60D0D
	v_fma_f32 v118, v14, v6, v118                              // 000000004A38: D1CB0076 05DA0D0E
	v_fma_f32 v119, v15, v6, v119                              // 000000004A40: D1CB0077 05DE0D0F
	v_mul_f32_dpp v6, v24, v39 row_newbcast:2 row_mask:0xf bank_mask:0xf// 000000004A48: 0A0C4EFA FF015218
	v_mfma_f32_16x16x32_fp8_fp8 v[12:15], a[88:89], a[40:41], 0// 000000004A50: D3F3000C 1A025158
	v_mfma_f32_16x16x32_fp8_fp8 v[12:15], a[90:91], a[42:43], v[12:15]// 000000004A58: D3F3000C 1C32555A
	buffer_load_dword v44, s[20:23], 0 offen lds               // 000000004A60: E0511000 8005002C
	s_add_u32 m0, 0x500, s49                                   // 000000004A68: 807C31FF 00000500
	v_mfma_f32_16x16x32_fp8_fp8 v[12:15], a[92:93], a[44:45], v[12:15]// 000000004A70: D3F3000C 1C32595C
	v_mfma_f32_16x16x32_fp8_fp8 v[12:15], a[94:95], a[46:47], v[12:15]// 000000004A78: D3F3000C 1C325D5E
	buffer_load_dword v45, s[20:23], 0 offen lds               // 000000004A80: E0511000 8005002D
	s_add_u32 m0, 0, s48                                       // 000000004A88: 807C3080
	v_fma_f32 v120, v8, v4, v120                               // 000000004A8C: D1CB0078 05E20908
	v_fma_f32 v121, v9, v4, v121                               // 000000004A94: D1CB0079 05E60909
	v_fma_f32 v122, v10, v4, v122                              // 000000004A9C: D1CB007A 05EA090A
	v_fma_f32 v123, v11, v4, v123                              // 000000004AA4: D1CB007B 05EE090B
	s_waitcnt vmcnt(25)                                        // 000000004AAC: BF8C4F79
	v_mul_f32_dpp v4, v24, v37 row_newbcast:3 row_mask:0xf bank_mask:0xf// 000000004AB0: 0A084AFA FF015318
	v_mfma_f32_16x16x32_fp8_fp8 v[8:11], a[96:97], a[24:25], 0 // 000000004AB8: D3F30008 1A023160
	v_mfma_f32_16x16x32_fp8_fp8 v[8:11], a[98:99], a[26:27], v[8:11]// 000000004AC0: D3F30008 1C223562
	buffer_load_dword v34, v28, s[28:31], 0 offen              // 000000004AC8: E0501000 8007221C
	v_mfma_f32_16x16x32_fp8_fp8 v[8:11], a[100:101], a[28:29], v[8:11]// 000000004AD0: D3F30008 1C223964
	v_mfma_f32_16x16x32_fp8_fp8 v[8:11], a[102:103], a[30:31], v[8:11]// 000000004AD8: D3F30008 1C223D66
	buffer_load_dword v35, v29, s[28:31], 0 offen              // 000000004AE0: E0501000 8007231D
	v_fma_f32 v124, v12, v6, v124                              // 000000004AE8: D1CB007C 05F20D0C
	v_fma_f32 v125, v13, v6, v125                              // 000000004AF0: D1CB007D 05F60D0D
	v_fma_f32 v126, v14, v6, v126                              // 000000004AF8: D1CB007E 05FA0D0E
	v_fma_f32 v127, v15, v6, v127                              // 000000004B00: D1CB007F 05FE0D0F
	v_mul_f32_dpp v6, v24, v38 row_newbcast:3 row_mask:0xf bank_mask:0xf// 000000004B08: 0A0C4CFA FF015318
	v_mfma_f32_16x16x32_fp8_fp8 v[12:15], a[96:97], a[32:33], 0// 000000004B10: D3F3000C 1A024160
	v_mfma_f32_16x16x32_fp8_fp8 v[12:15], a[98:99], a[34:35], v[12:15]// 000000004B18: D3F3000C 1C324562
	buffer_load_dword v36, v30, s[28:31], 0 offen              // 000000004B20: E0501000 8007241E
	v_mfma_f32_16x16x32_fp8_fp8 v[12:15], a[100:101], a[36:37], v[12:15]// 000000004B28: D3F3000C 1C324964
	v_mfma_f32_16x16x32_fp8_fp8 v[12:15], a[102:103], a[38:39], v[12:15]// 000000004B30: D3F3000C 1C324D66
	v_fma_f32 v128, v8, v4, v128                               // 000000004B38: D1CB0080 06020908
	v_fma_f32 v129, v9, v4, v129                               // 000000004B40: D1CB0081 06060909
	v_fma_f32 v130, v10, v4, v130                              // 000000004B48: D1CB0082 060A090A
	v_fma_f32 v131, v11, v4, v131                              // 000000004B50: D1CB0083 060E090B
	v_mul_f32_dpp v4, v24, v39 row_newbcast:3 row_mask:0xf bank_mask:0xf// 000000004B58: 0A084EFA FF015318
	v_mfma_f32_16x16x32_fp8_fp8 v[8:11], a[96:97], a[40:41], 0 // 000000004B60: D3F30008 1A025160
	v_mfma_f32_16x16x32_fp8_fp8 v[8:11], a[98:99], a[42:43], v[8:11]// 000000004B68: D3F30008 1C225562
	v_mfma_f32_16x16x32_fp8_fp8 v[8:11], a[100:101], a[44:45], v[8:11]// 000000004B70: D3F30008 1C225964
	v_mfma_f32_16x16x32_fp8_fp8 v[8:11], a[102:103], a[46:47], v[8:11]// 000000004B78: D3F30008 1C225D66
	v_fma_f32 v132, v12, v6, v132                              // 000000004B80: D1CB0084 06120D0C
	v_fma_f32 v133, v13, v6, v133                              // 000000004B88: D1CB0085 06160D0D
	v_fma_f32 v134, v14, v6, v134                              // 000000004B90: D1CB0086 061A0D0E
	v_fma_f32 v135, v15, v6, v135                              // 000000004B98: D1CB0087 061E0D0F
	s_waitcnt vmcnt(26)                                        // 000000004BA0: BF8C4F7A
	v_mul_f32_dpp v6, v24, v37 row_newbcast:3 row_mask:0xf bank_mask:0xf// 000000004BA4: 0A0C4AFA FF015318
	v_mfma_f32_16x16x32_fp8_fp8 v[12:15], a[104:105], a[24:25], 0// 000000004BAC: D3F3000C 1A023168
	v_mfma_f32_16x16x32_fp8_fp8 v[12:15], a[106:107], a[26:27], v[12:15]// 000000004BB4: D3F3000C 1C32356A
	v_mfma_f32_16x16x32_fp8_fp8 v[12:15], a[108:109], a[28:29], v[12:15]// 000000004BBC: D3F3000C 1C32396C
	v_mfma_f32_16x16x32_fp8_fp8 v[12:15], a[110:111], a[30:31], v[12:15]// 000000004BC4: D3F3000C 1C323D6E
	v_fma_f32 v136, v8, v4, v136                               // 000000004BCC: D1CB0088 06220908
	v_fma_f32 v137, v9, v4, v137                               // 000000004BD4: D1CB0089 06260909
	v_fma_f32 v138, v10, v4, v138                              // 000000004BDC: D1CB008A 062A090A
	v_fma_f32 v139, v11, v4, v139                              // 000000004BE4: D1CB008B 062E090B
	v_mul_f32_dpp v4, v24, v38 row_newbcast:3 row_mask:0xf bank_mask:0xf// 000000004BEC: 0A084CFA FF015318
	v_mfma_f32_16x16x32_fp8_fp8 v[8:11], a[104:105], a[32:33], 0// 000000004BF4: D3F30008 1A024168
	v_mfma_f32_16x16x32_fp8_fp8 v[8:11], a[106:107], a[34:35], v[8:11]// 000000004BFC: D3F30008 1C22456A
	v_mfma_f32_16x16x32_fp8_fp8 v[8:11], a[108:109], a[36:37], v[8:11]// 000000004C04: D3F30008 1C22496C
	v_mfma_f32_16x16x32_fp8_fp8 v[8:11], a[110:111], a[38:39], v[8:11]// 000000004C0C: D3F30008 1C224D6E
	v_fma_f32 v140, v12, v6, v140                              // 000000004C14: D1CB008C 06320D0C
	v_fma_f32 v141, v13, v6, v141                              // 000000004C1C: D1CB008D 06360D0D
	v_fma_f32 v142, v14, v6, v142                              // 000000004C24: D1CB008E 063A0D0E
	v_fma_f32 v143, v15, v6, v143                              // 000000004C2C: D1CB008F 063E0D0F
	v_mul_f32_dpp v6, v24, v39 row_newbcast:3 row_mask:0xf bank_mask:0xf// 000000004C34: 0A0C4EFA FF015318
	v_mfma_f32_16x16x32_fp8_fp8 v[12:15], a[104:105], a[40:41], 0// 000000004C3C: D3F3000C 1A025168
	v_mfma_f32_16x16x32_fp8_fp8 v[12:15], a[106:107], a[42:43], v[12:15]// 000000004C44: D3F3000C 1C32556A
	s_add_u32 s60, 0x80, s80                                   // 000000004C4C: 803C50FF 00000080
	s_cmp_lt_u32 s60, s81                                      // 000000004C54: BF0A513C
	s_cselect_b32 s83, s83, 0                                  // 000000004C58: 85538053
	s_cselect_b32 s4, s4, 0                                    // 000000004C5C: 85048004
	v_mfma_f32_16x16x32_fp8_fp8 v[12:15], a[108:109], a[44:45], v[12:15]// 000000004C60: D3F3000C 1C32596C
	s_add_u32 s32, s4, s32                                     // 000000004C68: 80202004
	s_addc_u32 s33, 0, s33                                     // 000000004C6C: 82212180
	v_mfma_f32_16x16x32_fp8_fp8 v[12:15], a[110:111], a[46:47], v[12:15]// 000000004C70: D3F3000C 1C325D6E
	v_fma_f32 v144, v8, v4, v144                               // 000000004C78: D1CB0090 06420908
	v_fma_f32 v145, v9, v4, v145                               // 000000004C80: D1CB0091 06460909
	v_fma_f32 v146, v10, v4, v146                              // 000000004C88: D1CB0092 064A090A
	v_fma_f32 v147, v11, v4, v147                              // 000000004C90: D1CB0093 064E090B
	v_fma_f32 v148, v12, v6, v148                              // 000000004C98: D1CB0094 06520D0C
	v_fma_f32 v149, v13, v6, v149                              // 000000004CA0: D1CB0095 06560D0D
	v_fma_f32 v150, v14, v6, v150                              // 000000004CA8: D1CB0096 065A0D0E
	v_fma_f32 v151, v15, v6, v151                              // 000000004CB0: D1CB0097 065E0D0F
	s_waitcnt vmcnt(9)                                         // 000000004CB8: BF8C0F79
	v_mul_f32_dpp v4, v27, v37 row_newbcast:0 row_mask:0xf bank_mask:0xf// 000000004CBC: 0A084AFA FF01501B
	v_mfma_f32_16x16x32_fp8_fp8 v[8:11], a[112:113], a[24:25], 0// 000000004CC4: D3F30008 1A023170
	buffer_load_dword v24, v22, s[32:35], 0 offen              // 000000004CCC: E0501000 80081816
	v_mfma_f32_16x16x32_fp8_fp8 v[8:11], a[114:115], a[26:27], v[8:11]// 000000004CD4: D3F30008 1C223572
	buffer_load_dwordx4 a[48:51], v46, s[24:27], 0 offen       // 000000004CDC: E05C1000 8086302E
	v_mfma_f32_16x16x32_fp8_fp8 v[8:11], a[116:117], a[28:29], v[8:11]// 000000004CE4: D3F30008 1C223974
	v_mfma_f32_16x16x32_fp8_fp8 v[8:11], a[118:119], a[30:31], v[8:11]// 000000004CEC: D3F30008 1C223D76
	ds_read_b128 a[0:3], v2                                    // 000000004CF4: DBFE0000 00000002
	ds_read_b128 a[4:7], v2 offset:64                          // 000000004CFC: DBFE0040 04000002
	v_mfma_f32_16x16x32_fp8_fp8 v[12:15], a[120:121], a[24:25], 0// 000000004D04: D3F3000C 1A023178
	v_mfma_f32_16x16x32_fp8_fp8 v[12:15], a[122:123], a[26:27], v[12:15]// 000000004D0C: D3F3000C 1C32357A
	buffer_load_dwordx4 a[52:55], v46, s[24:27], 0 offen offset:1024// 000000004D14: E05C1400 8086342E
	v_mfma_f32_16x16x32_fp8_fp8 v[12:15], a[124:125], a[28:29], v[12:15]// 000000004D1C: D3F3000C 1C32397C
	v_mfma_f32_16x16x32_fp8_fp8 v[12:15], a[126:127], a[30:31], v[12:15]// 000000004D24: D3F3000C 1C323D7E
	ds_read_b128 a[8:11], v2 offset:512                        // 000000004D2C: DBFE0200 08000002
	ds_read_b128 a[12:15], v2 offset:576                       // 000000004D34: DBFE0240 0C000002
	v_fma_f32 v152, v8, v4, v152                               // 000000004D3C: D1CB0098 06620908
	v_fma_f32 v153, v9, v4, v153                               // 000000004D44: D1CB0099 06660909
	v_fma_f32 v154, v10, v4, v154                              // 000000004D4C: D1CB009A 066A090A
	v_fma_f32 v155, v11, v4, v155                              // 000000004D54: D1CB009B 066E090B
	v_mul_f32_dpp v6, v27, v37 row_newbcast:1 row_mask:0xf bank_mask:0xf// 000000004D5C: 0A0C4AFA FF01511B
	v_mfma_f32_16x16x32_fp8_fp8 v[8:11], a[128:129], a[24:25], 0// 000000004D64: D3F30008 1A023180
	v_mfma_f32_16x16x32_fp8_fp8 v[8:11], a[130:131], a[26:27], v[8:11]// 000000004D6C: D3F30008 1C223582
	buffer_load_dwordx4 a[56:59], v47, s[24:27], 0 offen       // 000000004D74: E05C1000 8086382F
	v_mfma_f32_16x16x32_fp8_fp8 v[8:11], a[132:133], a[28:29], v[8:11]// 000000004D7C: D3F30008 1C223984
	v_mfma_f32_16x16x32_fp8_fp8 v[8:11], a[134:135], a[30:31], v[8:11]// 000000004D84: D3F30008 1C223D86
	ds_read_b128 a[16:19], v2 offset:1024                      // 000000004D8C: DBFE0400 10000002
	ds_read_b128 a[20:23], v2 offset:1088                      // 000000004D94: DBFE0440 14000002
	v_fma_f32 v164, v12, v4, v164                              // 000000004D9C: D1CB00A4 0692090C
	v_fma_f32 v165, v13, v4, v165                              // 000000004DA4: D1CB00A5 0696090D
	v_fma_f32 v166, v14, v4, v166                              // 000000004DAC: D1CB00A6 069A090E
	v_fma_f32 v167, v15, v4, v167                              // 000000004DB4: D1CB00A7 069E090F
	v_mfma_f32_16x16x32_fp8_fp8 v[12:15], a[136:137], a[24:25], 0// 000000004DBC: D3F3000C 1A023188
	v_mfma_f32_16x16x32_fp8_fp8 v[12:15], a[138:139], a[26:27], v[12:15]// 000000004DC4: D3F3000C 1C32358A
	buffer_load_dwordx4 a[60:63], v47, s[24:27], 0 offen offset:1024// 000000004DCC: E05C1400 80863C2F
	v_mfma_f32_16x16x32_fp8_fp8 v[12:15], a[140:141], a[28:29], v[12:15]// 000000004DD4: D3F3000C 1C32398C
	v_mfma_f32_16x16x32_fp8_fp8 v[12:15], a[142:143], a[30:31], v[12:15]// 000000004DDC: D3F3000C 1C323D8E
	v_fma_f32 v176, v8, v6, v176                               // 000000004DE4: D1CB00B0 06C20D08
	v_fma_f32 v177, v9, v6, v177                               // 000000004DEC: D1CB00B1 06C60D09
	v_fma_f32 v178, v10, v6, v178                              // 000000004DF4: D1CB00B2 06CA0D0A
	v_fma_f32 v179, v11, v6, v179                              // 000000004DFC: D1CB00B3 06CE0D0B
	v_mul_f32_dpp v4, v27, v37 row_newbcast:2 row_mask:0xf bank_mask:0xf// 000000004E04: 0A084AFA FF01521B
	v_mfma_f32_16x16x32_fp8_fp8 v[8:11], a[144:145], a[24:25], 0// 000000004E0C: D3F30008 1A023190
	v_mfma_f32_16x16x32_fp8_fp8 v[8:11], a[146:147], a[26:27], v[8:11]// 000000004E14: D3F30008 1C223592
	buffer_load_dwordx4 a[64:67], v48, s[24:27], 0 offen       // 000000004E1C: E05C1000 80864030
	v_mfma_f32_16x16x32_fp8_fp8 v[8:11], a[148:149], a[28:29], v[8:11]// 000000004E24: D3F30008 1C223994
	v_mfma_f32_16x16x32_fp8_fp8 v[8:11], a[150:151], a[30:31], v[8:11]// 000000004E2C: D3F30008 1C223D96
	v_fma_f32 v188, v12, v6, v188                              // 000000004E34: D1CB00BC 06F20D0C
	v_fma_f32 v189, v13, v6, v189                              // 000000004E3C: D1CB00BD 06F60D0D
	v_fma_f32 v190, v14, v6, v190                              // 000000004E44: D1CB00BE 06FA0D0E
	v_fma_f32 v191, v15, v6, v191                              // 000000004E4C: D1CB00BF 06FE0D0F
	v_mfma_f32_16x16x32_fp8_fp8 v[12:15], a[152:153], a[24:25], 0// 000000004E54: D3F3000C 1A023198
	v_mfma_f32_16x16x32_fp8_fp8 v[12:15], a[154:155], a[26:27], v[12:15]// 000000004E5C: D3F3000C 1C32359A
	buffer_load_dwordx4 a[68:71], v48, s[24:27], 0 offen offset:1024// 000000004E64: E05C1400 80864430
	v_mfma_f32_16x16x32_fp8_fp8 v[12:15], a[156:157], a[28:29], v[12:15]// 000000004E6C: D3F3000C 1C32399C
	v_mfma_f32_16x16x32_fp8_fp8 v[12:15], a[158:159], a[30:31], v[12:15]// 000000004E74: D3F3000C 1C323D9E
	v_fma_f32 v200, v8, v4, v200                               // 000000004E7C: D1CB00C8 07220908
	v_fma_f32 v201, v9, v4, v201                               // 000000004E84: D1CB00C9 07260909
	v_fma_f32 v202, v10, v4, v202                              // 000000004E8C: D1CB00CA 072A090A
	v_fma_f32 v203, v11, v4, v203                              // 000000004E94: D1CB00CB 072E090B
	v_mul_f32_dpp v6, v27, v37 row_newbcast:3 row_mask:0xf bank_mask:0xf// 000000004E9C: 0A0C4AFA FF01531B
	v_mfma_f32_16x16x32_fp8_fp8 v[8:11], a[160:161], a[24:25], 0// 000000004EA4: D3F30008 1A0231A0
	v_mfma_f32_16x16x32_fp8_fp8 v[8:11], a[162:163], a[26:27], v[8:11]// 000000004EAC: D3F30008 1C2235A2
	buffer_load_dwordx4 a[72:75], v49, s[24:27], 0 offen       // 000000004EB4: E05C1000 80864831
	v_mfma_f32_16x16x32_fp8_fp8 v[8:11], a[164:165], a[28:29], v[8:11]// 000000004EBC: D3F30008 1C2239A4
	v_mfma_f32_16x16x32_fp8_fp8 v[8:11], a[166:167], a[30:31], v[8:11]// 000000004EC4: D3F30008 1C223DA6
	v_fma_f32 v212, v12, v4, v212                              // 000000004ECC: D1CB00D4 0752090C
	v_fma_f32 v213, v13, v4, v213                              // 000000004ED4: D1CB00D5 0756090D
	v_fma_f32 v214, v14, v4, v214                              // 000000004EDC: D1CB00D6 075A090E
	v_fma_f32 v215, v15, v4, v215                              // 000000004EE4: D1CB00D7 075E090F
	v_mfma_f32_16x16x32_fp8_fp8 v[12:15], a[168:169], a[24:25], 0// 000000004EEC: D3F3000C 1A0231A8
	v_mfma_f32_16x16x32_fp8_fp8 v[12:15], a[170:171], a[26:27], v[12:15]// 000000004EF4: D3F3000C 1C3235AA
	buffer_load_dwordx4 a[76:79], v49, s[24:27], 0 offen offset:1024// 000000004EFC: E05C1400 80864C31
	v_mfma_f32_16x16x32_fp8_fp8 v[12:15], a[172:173], a[28:29], v[12:15]// 000000004F04: D3F3000C 1C3239AC
	v_mfma_f32_16x16x32_fp8_fp8 v[12:15], a[174:175], a[30:31], v[12:15]// 000000004F0C: D3F3000C 1C323DAE
	v_fma_f32 v224, v8, v6, v224                               // 000000004F14: D1CB00E0 07820D08
	v_fma_f32 v225, v9, v6, v225                               // 000000004F1C: D1CB00E1 07860D09
	v_fma_f32 v226, v10, v6, v226                              // 000000004F24: D1CB00E2 078A0D0A
	v_fma_f32 v227, v11, v6, v227                              // 000000004F2C: D1CB00E3 078E0D0B
	v_mul_f32_dpp v4, v27, v38 row_newbcast:0 row_mask:0xf bank_mask:0xf// 000000004F34: 0A084CFA FF01501B
	v_mfma_f32_16x16x32_fp8_fp8 v[8:11], a[112:113], a[32:33], 0// 000000004F3C: D3F30008 1A024170
	v_mfma_f32_16x16x32_fp8_fp8 v[8:11], a[114:115], a[34:35], v[8:11]// 000000004F44: D3F30008 1C224572
	buffer_load_dwordx4 a[80:83], v50, s[24:27], 0 offen       // 000000004F4C: E05C1000 80865032
	v_mfma_f32_16x16x32_fp8_fp8 v[8:11], a[116:117], a[36:37], v[8:11]// 000000004F54: D3F30008 1C224974
	v_mfma_f32_16x16x32_fp8_fp8 v[8:11], a[118:119], a[38:39], v[8:11]// 000000004F5C: D3F30008 1C224D76
	v_fma_f32 v236, v12, v6, v236                              // 000000004F64: D1CB00EC 07B20D0C
	v_fma_f32 v237, v13, v6, v237                              // 000000004F6C: D1CB00ED 07B60D0D
	v_fma_f32 v238, v14, v6, v238                              // 000000004F74: D1CB00EE 07BA0D0E
	v_fma_f32 v239, v15, v6, v239                              // 000000004F7C: D1CB00EF 07BE0D0F
	v_mfma_f32_16x16x32_fp8_fp8 v[12:15], a[120:121], a[32:33], 0// 000000004F84: D3F3000C 1A024178
	v_mfma_f32_16x16x32_fp8_fp8 v[12:15], a[122:123], a[34:35], v[12:15]// 000000004F8C: D3F3000C 1C32457A
	buffer_load_dwordx4 a[84:87], v50, s[24:27], 0 offen offset:1024// 000000004F94: E05C1400 80865432
	v_mfma_f32_16x16x32_fp8_fp8 v[12:15], a[124:125], a[36:37], v[12:15]// 000000004F9C: D3F3000C 1C32497C
	v_mfma_f32_16x16x32_fp8_fp8 v[12:15], a[126:127], a[38:39], v[12:15]// 000000004FA4: D3F3000C 1C324D7E
	v_fma_f32 v156, v8, v4, v156                               // 000000004FAC: D1CB009C 06720908
	v_fma_f32 v157, v9, v4, v157                               // 000000004FB4: D1CB009D 06760909
	v_fma_f32 v158, v10, v4, v158                              // 000000004FBC: D1CB009E 067A090A
	v_fma_f32 v159, v11, v4, v159                              // 000000004FC4: D1CB009F 067E090B
	v_mul_f32_dpp v6, v27, v38 row_newbcast:1 row_mask:0xf bank_mask:0xf// 000000004FCC: 0A0C4CFA FF01511B
	v_mfma_f32_16x16x32_fp8_fp8 v[8:11], a[128:129], a[32:33], 0// 000000004FD4: D3F30008 1A024180
	v_mfma_f32_16x16x32_fp8_fp8 v[8:11], a[130:131], a[34:35], v[8:11]// 000000004FDC: D3F30008 1C224582
	buffer_load_dwordx4 a[88:91], v51, s[24:27], 0 offen       // 000000004FE4: E05C1000 80865833
	v_mfma_f32_16x16x32_fp8_fp8 v[8:11], a[132:133], a[36:37], v[8:11]// 000000004FEC: D3F30008 1C224984
	v_mfma_f32_16x16x32_fp8_fp8 v[8:11], a[134:135], a[38:39], v[8:11]// 000000004FF4: D3F30008 1C224D86
	v_fma_f32 v168, v12, v4, v168                              // 000000004FFC: D1CB00A8 06A2090C
	v_fma_f32 v169, v13, v4, v169                              // 000000005004: D1CB00A9 06A6090D
	v_fma_f32 v170, v14, v4, v170                              // 00000000500C: D1CB00AA 06AA090E
	v_fma_f32 v171, v15, v4, v171                              // 000000005014: D1CB00AB 06AE090F
	v_mfma_f32_16x16x32_fp8_fp8 v[12:15], a[136:137], a[32:33], 0// 00000000501C: D3F3000C 1A024188
	v_mfma_f32_16x16x32_fp8_fp8 v[12:15], a[138:139], a[34:35], v[12:15]// 000000005024: D3F3000C 1C32458A
	buffer_load_dwordx4 a[92:95], v51, s[24:27], 0 offen offset:1024// 00000000502C: E05C1400 80865C33
	v_mfma_f32_16x16x32_fp8_fp8 v[12:15], a[140:141], a[36:37], v[12:15]// 000000005034: D3F3000C 1C32498C
	v_mfma_f32_16x16x32_fp8_fp8 v[12:15], a[142:143], a[38:39], v[12:15]// 00000000503C: D3F3000C 1C324D8E
	v_fma_f32 v180, v8, v6, v180                               // 000000005044: D1CB00B4 06D20D08
	v_fma_f32 v181, v9, v6, v181                               // 00000000504C: D1CB00B5 06D60D09
	v_fma_f32 v182, v10, v6, v182                              // 000000005054: D1CB00B6 06DA0D0A
	v_fma_f32 v183, v11, v6, v183                              // 00000000505C: D1CB00B7 06DE0D0B
	v_mul_f32_dpp v4, v27, v38 row_newbcast:2 row_mask:0xf bank_mask:0xf// 000000005064: 0A084CFA FF01521B
	v_mfma_f32_16x16x32_fp8_fp8 v[8:11], a[144:145], a[32:33], 0// 00000000506C: D3F30008 1A024190
	v_mfma_f32_16x16x32_fp8_fp8 v[8:11], a[146:147], a[34:35], v[8:11]// 000000005074: D3F30008 1C224592
	buffer_load_dwordx4 a[96:99], v52, s[24:27], 0 offen       // 00000000507C: E05C1000 80866034
	v_mfma_f32_16x16x32_fp8_fp8 v[8:11], a[148:149], a[36:37], v[8:11]// 000000005084: D3F30008 1C224994
	v_mfma_f32_16x16x32_fp8_fp8 v[8:11], a[150:151], a[38:39], v[8:11]// 00000000508C: D3F30008 1C224D96
	v_fma_f32 v192, v12, v6, v192                              // 000000005094: D1CB00C0 07020D0C
	v_fma_f32 v193, v13, v6, v193                              // 00000000509C: D1CB00C1 07060D0D
	v_fma_f32 v194, v14, v6, v194                              // 0000000050A4: D1CB00C2 070A0D0E
	v_fma_f32 v195, v15, v6, v195                              // 0000000050AC: D1CB00C3 070E0D0F
	v_mfma_f32_16x16x32_fp8_fp8 v[12:15], a[152:153], a[32:33], 0// 0000000050B4: D3F3000C 1A024198
	v_mfma_f32_16x16x32_fp8_fp8 v[12:15], a[154:155], a[34:35], v[12:15]// 0000000050BC: D3F3000C 1C32459A
	buffer_load_dwordx4 a[100:103], v52, s[24:27], 0 offen offset:1024// 0000000050C4: E05C1400 80866434
	v_mfma_f32_16x16x32_fp8_fp8 v[12:15], a[156:157], a[36:37], v[12:15]// 0000000050CC: D3F3000C 1C32499C
	v_mfma_f32_16x16x32_fp8_fp8 v[12:15], a[158:159], a[38:39], v[12:15]// 0000000050D4: D3F3000C 1C324D9E
	v_fma_f32 v204, v8, v4, v204                               // 0000000050DC: D1CB00CC 07320908
	v_fma_f32 v205, v9, v4, v205                               // 0000000050E4: D1CB00CD 07360909
	v_fma_f32 v206, v10, v4, v206                              // 0000000050EC: D1CB00CE 073A090A
	v_fma_f32 v207, v11, v4, v207                              // 0000000050F4: D1CB00CF 073E090B
	v_mul_f32_dpp v6, v27, v38 row_newbcast:3 row_mask:0xf bank_mask:0xf// 0000000050FC: 0A0C4CFA FF01531B
	v_mfma_f32_16x16x32_fp8_fp8 v[8:11], a[160:161], a[32:33], 0// 000000005104: D3F30008 1A0241A0
	v_mfma_f32_16x16x32_fp8_fp8 v[8:11], a[162:163], a[34:35], v[8:11]// 00000000510C: D3F30008 1C2245A2
	buffer_load_dwordx4 a[104:107], v53, s[24:27], 0 offen     // 000000005114: E05C1000 80866835
	v_mfma_f32_16x16x32_fp8_fp8 v[8:11], a[164:165], a[36:37], v[8:11]// 00000000511C: D3F30008 1C2249A4
	v_mfma_f32_16x16x32_fp8_fp8 v[8:11], a[166:167], a[38:39], v[8:11]// 000000005124: D3F30008 1C224DA6
	v_fma_f32 v216, v12, v4, v216                              // 00000000512C: D1CB00D8 0762090C
	v_fma_f32 v217, v13, v4, v217                              // 000000005134: D1CB00D9 0766090D
	v_fma_f32 v218, v14, v4, v218                              // 00000000513C: D1CB00DA 076A090E
	v_fma_f32 v219, v15, v4, v219                              // 000000005144: D1CB00DB 076E090F
	v_mfma_f32_16x16x32_fp8_fp8 v[12:15], a[168:169], a[32:33], 0// 00000000514C: D3F3000C 1A0241A8
	v_mfma_f32_16x16x32_fp8_fp8 v[12:15], a[170:171], a[34:35], v[12:15]// 000000005154: D3F3000C 1C3245AA
	buffer_load_dwordx4 a[108:111], v53, s[24:27], 0 offen offset:1024// 00000000515C: E05C1400 80866C35
	v_mfma_f32_16x16x32_fp8_fp8 v[12:15], a[172:173], a[36:37], v[12:15]// 000000005164: D3F3000C 1C3249AC
	v_mfma_f32_16x16x32_fp8_fp8 v[12:15], a[174:175], a[38:39], v[12:15]// 00000000516C: D3F3000C 1C324DAE
	v_fma_f32 v228, v8, v6, v228                               // 000000005174: D1CB00E4 07920D08
	v_fma_f32 v229, v9, v6, v229                               // 00000000517C: D1CB00E5 07960D09
	v_fma_f32 v230, v10, v6, v230                              // 000000005184: D1CB00E6 079A0D0A
	v_fma_f32 v231, v11, v6, v231                              // 00000000518C: D1CB00E7 079E0D0B
	v_mul_f32_dpp v4, v27, v39 row_newbcast:0 row_mask:0xf bank_mask:0xf// 000000005194: 0A084EFA FF01501B
	v_mfma_f32_16x16x32_fp8_fp8 v[8:11], a[112:113], a[40:41], 0// 00000000519C: D3F30008 1A025170
	v_mfma_f32_16x16x32_fp8_fp8 v[8:11], a[114:115], a[42:43], v[8:11]// 0000000051A4: D3F30008 1C225572
	v_mfma_f32_16x16x32_fp8_fp8 v[8:11], a[116:117], a[44:45], v[8:11]// 0000000051AC: D3F30008 1C225974
	v_mfma_f32_16x16x32_fp8_fp8 v[8:11], a[118:119], a[46:47], v[8:11]// 0000000051B4: D3F30008 1C225D76
	v_fma_f32 v240, v12, v6, v240                              // 0000000051BC: D1CB00F0 07C20D0C
	v_fma_f32 v241, v13, v6, v241                              // 0000000051C4: D1CB00F1 07C60D0D
	v_fma_f32 v242, v14, v6, v242                              // 0000000051CC: D1CB00F2 07CA0D0E
	v_fma_f32 v243, v15, v6, v243                              // 0000000051D4: D1CB00F3 07CE0D0F
	v_mfma_f32_16x16x32_fp8_fp8 v[12:15], a[120:121], a[40:41], 0// 0000000051DC: D3F3000C 1A025178
	v_mfma_f32_16x16x32_fp8_fp8 v[12:15], a[122:123], a[42:43], v[12:15]// 0000000051E4: D3F3000C 1C32557A
	v_mfma_f32_16x16x32_fp8_fp8 v[12:15], a[124:125], a[44:45], v[12:15]// 0000000051EC: D3F3000C 1C32597C
	v_mfma_f32_16x16x32_fp8_fp8 v[12:15], a[126:127], a[46:47], v[12:15]// 0000000051F4: D3F3000C 1C325D7E
	v_fma_f32 v160, v8, v4, v160                               // 0000000051FC: D1CB00A0 06820908
	v_fma_f32 v161, v9, v4, v161                               // 000000005204: D1CB00A1 06860909
	v_fma_f32 v162, v10, v4, v162                              // 00000000520C: D1CB00A2 068A090A
	v_fma_f32 v163, v11, v4, v163                              // 000000005214: D1CB00A3 068E090B
	v_mul_f32_dpp v6, v27, v39 row_newbcast:1 row_mask:0xf bank_mask:0xf// 00000000521C: 0A0C4EFA FF01511B
	v_mfma_f32_16x16x32_fp8_fp8 v[8:11], a[128:129], a[40:41], 0// 000000005224: D3F30008 1A025180
	v_mfma_f32_16x16x32_fp8_fp8 v[8:11], a[130:131], a[42:43], v[8:11]// 00000000522C: D3F30008 1C225582
	v_mfma_f32_16x16x32_fp8_fp8 v[8:11], a[132:133], a[44:45], v[8:11]// 000000005234: D3F30008 1C225984
	v_mfma_f32_16x16x32_fp8_fp8 v[8:11], a[134:135], a[46:47], v[8:11]// 00000000523C: D3F30008 1C225D86
	v_fma_f32 v172, v12, v4, v172                              // 000000005244: D1CB00AC 06B2090C
	v_fma_f32 v173, v13, v4, v173                              // 00000000524C: D1CB00AD 06B6090D
	v_fma_f32 v174, v14, v4, v174                              // 000000005254: D1CB00AE 06BA090E
	v_fma_f32 v175, v15, v4, v175                              // 00000000525C: D1CB00AF 06BE090F
	v_mfma_f32_16x16x32_fp8_fp8 v[12:15], a[136:137], a[40:41], 0// 000000005264: D3F3000C 1A025188
	v_mfma_f32_16x16x32_fp8_fp8 v[12:15], a[138:139], a[42:43], v[12:15]// 00000000526C: D3F3000C 1C32558A
	v_mfma_f32_16x16x32_fp8_fp8 v[12:15], a[140:141], a[44:45], v[12:15]// 000000005274: D3F3000C 1C32598C
	v_mfma_f32_16x16x32_fp8_fp8 v[12:15], a[142:143], a[46:47], v[12:15]// 00000000527C: D3F3000C 1C325D8E
	v_fma_f32 v184, v8, v6, v184                               // 000000005284: D1CB00B8 06E20D08
	v_fma_f32 v185, v9, v6, v185                               // 00000000528C: D1CB00B9 06E60D09
	v_fma_f32 v186, v10, v6, v186                              // 000000005294: D1CB00BA 06EA0D0A
	v_fma_f32 v187, v11, v6, v187                              // 00000000529C: D1CB00BB 06EE0D0B
	v_mul_f32_dpp v4, v27, v39 row_newbcast:2 row_mask:0xf bank_mask:0xf// 0000000052A4: 0A084EFA FF01521B
	v_mfma_f32_16x16x32_fp8_fp8 v[8:11], a[144:145], a[40:41], 0// 0000000052AC: D3F30008 1A025190
	v_mfma_f32_16x16x32_fp8_fp8 v[8:11], a[146:147], a[42:43], v[8:11]// 0000000052B4: D3F30008 1C225592
	v_mfma_f32_16x16x32_fp8_fp8 v[8:11], a[148:149], a[44:45], v[8:11]// 0000000052BC: D3F30008 1C225994
	v_mfma_f32_16x16x32_fp8_fp8 v[8:11], a[150:151], a[46:47], v[8:11]// 0000000052C4: D3F30008 1C225D96
	v_fma_f32 v196, v12, v6, v196                              // 0000000052CC: D1CB00C4 07120D0C
	v_fma_f32 v197, v13, v6, v197                              // 0000000052D4: D1CB00C5 07160D0D
	v_fma_f32 v198, v14, v6, v198                              // 0000000052DC: D1CB00C6 071A0D0E
	v_fma_f32 v199, v15, v6, v199                              // 0000000052E4: D1CB00C7 071E0D0F
	v_mfma_f32_16x16x32_fp8_fp8 v[12:15], a[152:153], a[40:41], 0// 0000000052EC: D3F3000C 1A025198
	v_mfma_f32_16x16x32_fp8_fp8 v[12:15], a[154:155], a[42:43], v[12:15]// 0000000052F4: D3F3000C 1C32559A
	v_mfma_f32_16x16x32_fp8_fp8 v[12:15], a[156:157], a[44:45], v[12:15]// 0000000052FC: D3F3000C 1C32599C
	v_mfma_f32_16x16x32_fp8_fp8 v[12:15], a[158:159], a[46:47], v[12:15]// 000000005304: D3F3000C 1C325D9E
	v_fma_f32 v208, v8, v4, v208                               // 00000000530C: D1CB00D0 07420908
	v_fma_f32 v209, v9, v4, v209                               // 000000005314: D1CB00D1 07460909
	v_fma_f32 v210, v10, v4, v210                              // 00000000531C: D1CB00D2 074A090A
	v_fma_f32 v211, v11, v4, v211                              // 000000005324: D1CB00D3 074E090B
	v_mul_f32_dpp v6, v27, v39 row_newbcast:3 row_mask:0xf bank_mask:0xf// 00000000532C: 0A0C4EFA FF01531B
	v_mfma_f32_16x16x32_fp8_fp8 v[8:11], a[160:161], a[40:41], 0// 000000005334: D3F30008 1A0251A0
	v_mfma_f32_16x16x32_fp8_fp8 v[8:11], a[162:163], a[42:43], v[8:11]// 00000000533C: D3F30008 1C2255A2
	v_mfma_f32_16x16x32_fp8_fp8 v[8:11], a[164:165], a[44:45], v[8:11]// 000000005344: D3F30008 1C2259A4
	s_add_u32 s60, 0x180, s80                                  // 00000000534C: 803C50FF 00000180
	s_cmp_lt_u32 s60, s81                                      // 000000005354: BF0A513C
	s_cselect_b32 s57, s57, 0                                  // 000000005358: 85398039
	s_cselect_b32 s3, s3, 0                                    // 00000000535C: 85038003
	v_mfma_f32_16x16x32_fp8_fp8 v[8:11], a[166:167], a[46:47], v[8:11]// 000000005360: D3F30008 1C225DA6
	s_add_u32 s60, 0x100, s80                                  // 000000005368: 803C50FF 00000100
	s_cmp_lt_u32 s60, s81                                      // 000000005370: BF0A513C
	s_cselect_b32 s58, s58, 0                                  // 000000005374: 853A803A
	v_fma_f32 v220, v12, v4, v220                              // 000000005378: D1CB00DC 0772090C
	v_fma_f32 v221, v13, v4, v221                              // 000000005380: D1CB00DD 0776090D
	v_fma_f32 v222, v14, v4, v222                              // 000000005388: D1CB00DE 077A090E
	v_fma_f32 v223, v15, v4, v223                              // 000000005390: D1CB00DF 077E090F
	v_mfma_f32_16x16x32_fp8_fp8 v[12:15], a[168:169], a[40:41], 0// 000000005398: D3F3000C 1A0251A8
	s_add_u32 s24, s58, s24                                    // 0000000053A0: 8018183A
	s_addc_u32 s25, 0, s25                                     // 0000000053A4: 82191980
	v_mfma_f32_16x16x32_fp8_fp8 v[12:15], a[170:171], a[42:43], v[12:15]// 0000000053A8: D3F3000C 1C3255AA
	s_add_u32 s20, s57, s20                                    // 0000000053B0: 80141439
	s_addc_u32 s21, 0, s21                                     // 0000000053B4: 82151580
	s_add_u32 s28, s3, s28                                     // 0000000053B8: 801C1C03
	s_addc_u32 s29, 0, s29                                     // 0000000053BC: 821D1D80
	v_mfma_f32_16x16x32_fp8_fp8 v[12:15], a[172:173], a[44:45], v[12:15]// 0000000053C0: D3F3000C 1C3259AC
	s_add_u32 s84, s83, s84                                    // 0000000053C8: 80545453
	s_addc_u32 s85, 0, s85                                     // 0000000053CC: 82555580
	v_mfma_f32_16x16x32_fp8_fp8 v[12:15], a[174:175], a[46:47], v[12:15]// 0000000053D0: D3F3000C 1C325DAE
	v_fma_f32 v232, v8, v6, v232                               // 0000000053D8: D1CB00E8 07A20D08
	v_fma_f32 v233, v9, v6, v233                               // 0000000053E0: D1CB00E9 07A60D09
	v_fma_f32 v234, v10, v6, v234                              // 0000000053E8: D1CB00EA 07AA0D0A
	v_fma_f32 v235, v11, v6, v235                              // 0000000053F0: D1CB00EB 07AE0D0B
	v_fma_f32 v244, v12, v6, v244                              // 0000000053F8: D1CB00F4 07D20D0C
	v_fma_f32 v245, v13, v6, v245                              // 000000005400: D1CB00F5 07D60D0D
	v_fma_f32 v246, v14, v6, v246                              // 000000005408: D1CB00F6 07DA0D0E
	v_fma_f32 v247, v15, v6, v247                              // 000000005410: D1CB00F7 07DE0D0F
	s_addk_i32 s80, 0x80                                       // 000000005418: B7500080
	s_cmp_lt_i32 s80, s81                                      // 00000000541C: BF045150
	s_cbranch_scc0 label_0A8A                                  // 000000005420: BF840001
	s_branch label_02CF                                        // 000000005424: BF82F845

0000000000005428 <label_0A8A>:
	s_cmp_eq_u32 s88, 0                                        // 000000005428: BF068058
	s_cbranch_scc0 label_175B                                  // 00000000542C: BF840CCF
	s_cmp_eq_u32 s89, 0                                        // 000000005430: BF068059
	s_cbranch_scc1 label_0E53                                  // 000000005434: BF8503C5
	v_mov_b32_e32 v8, v1                                       // 000000005438: 7E100301
	v_mov_b32_e32 v9, v1                                       // 00000000543C: 7E120301
	s_mov_b32 s60, s6                                          // 000000005440: BEBC0006
	s_mov_b32 s61, s6                                          // 000000005444: BEBD0006
	v_pk_mul_f32 v[4:5], v[56:57], v[56:57]                    // 000000005448: D3B14004 18027138
	v_pk_mul_f32 v[6:7], v[58:59], v[58:59]                    // 000000005450: D3B14006 1802753A
	v_pk_fma_f32 v[4:5], v[4:5], s[78:79], v[8:9]              // 000000005458: D3B04004 1C209D04
	v_pk_fma_f32 v[6:7], v[6:7], s[78:79], v[8:9]              // 000000005460: D3B04006 1C209D06
	v_pk_mul_f32 v[4:5], v[4:5], v[56:57]                      // 000000005468: D3B14004 18027104
	v_pk_mul_f32 v[6:7], v[6:7], v[58:59]                      // 000000005470: D3B14006 18027506
	v_pk_mul_f32 v[4:5], v[4:5], s[60:61]                      // 000000005478: D3B14004 18007904
	v_pk_mul_f32 v[6:7], v[6:7], s[60:61]                      // 000000005480: D3B14006 18007906
	v_exp_f32_e32 v4, v4                                       // 000000005488: 7E084104
	v_exp_f32_e32 v5, v5                                       // 00000000548C: 7E0A4105
	v_exp_f32_e32 v6, v6                                       // 000000005490: 7E0C4106
	v_exp_f32_e32 v7, v7                                       // 000000005494: 7E0E4107
	v_add_f32_e64 v4, v4, 1.0                                  // 000000005498: D1010004 0001E504
	v_add_f32_e64 v5, v5, 1.0                                  // 0000000054A0: D1010005 0001E505
	v_add_f32_e64 v6, v6, 1.0                                  // 0000000054A8: D1010006 0001E506
	v_add_f32_e64 v7, v7, 1.0                                  // 0000000054B0: D1010007 0001E507
	v_rcp_f32_e32 v4, v4                                       // 0000000054B8: 7E084504
	v_rcp_f32_e32 v5, v5                                       // 0000000054BC: 7E0A4505
	v_rcp_f32_e32 v6, v6                                       // 0000000054C0: 7E0C4506
	v_rcp_f32_e32 v7, v7                                       // 0000000054C4: 7E0E4507
	v_mul_f32_e32 v56, v56, v4                                 // 0000000054C8: 0A700938
	v_mul_f32_e32 v57, v57, v5                                 // 0000000054CC: 0A720B39
	v_mul_f32_e32 v58, v58, v6                                 // 0000000054D0: 0A740D3A
	v_mul_f32_e32 v59, v59, v7                                 // 0000000054D4: 0A760F3B
	v_mul_f32_e32 v56, v56, v152                               // 0000000054D8: 0A713138
	v_mul_f32_e32 v57, v57, v153                               // 0000000054DC: 0A733339
	v_mul_f32_e32 v58, v58, v154                               // 0000000054E0: 0A75353A
	v_mul_f32_e32 v59, v59, v155                               // 0000000054E4: 0A77373B
	v_pk_mul_f32 v[4:5], v[60:61], v[60:61]                    // 0000000054E8: D3B14004 1802793C
	v_pk_mul_f32 v[6:7], v[62:63], v[62:63]                    // 0000000054F0: D3B14006 18027D3E
	v_pk_fma_f32 v[4:5], v[4:5], s[78:79], v[8:9]              // 0000000054F8: D3B04004 1C209D04
	v_pk_fma_f32 v[6:7], v[6:7], s[78:79], v[8:9]              // 000000005500: D3B04006 1C209D06
	v_pk_mul_f32 v[4:5], v[4:5], v[60:61]                      // 000000005508: D3B14004 18027904
	v_pk_mul_f32 v[6:7], v[6:7], v[62:63]                      // 000000005510: D3B14006 18027D06
	v_pk_mul_f32 v[4:5], v[4:5], s[60:61]                      // 000000005518: D3B14004 18007904
	v_pk_mul_f32 v[6:7], v[6:7], s[60:61]                      // 000000005520: D3B14006 18007906
	v_exp_f32_e32 v4, v4                                       // 000000005528: 7E084104
	v_exp_f32_e32 v5, v5                                       // 00000000552C: 7E0A4105
	v_exp_f32_e32 v6, v6                                       // 000000005530: 7E0C4106
	v_exp_f32_e32 v7, v7                                       // 000000005534: 7E0E4107
	v_add_f32_e64 v4, v4, 1.0                                  // 000000005538: D1010004 0001E504
	v_add_f32_e64 v5, v5, 1.0                                  // 000000005540: D1010005 0001E505
	v_add_f32_e64 v6, v6, 1.0                                  // 000000005548: D1010006 0001E506
	v_add_f32_e64 v7, v7, 1.0                                  // 000000005550: D1010007 0001E507
	v_rcp_f32_e32 v4, v4                                       // 000000005558: 7E084504
	v_rcp_f32_e32 v5, v5                                       // 00000000555C: 7E0A4505
	v_rcp_f32_e32 v6, v6                                       // 000000005560: 7E0C4506
	v_rcp_f32_e32 v7, v7                                       // 000000005564: 7E0E4507
	v_mul_f32_e32 v60, v60, v4                                 // 000000005568: 0A78093C
	v_mul_f32_e32 v61, v61, v5                                 // 00000000556C: 0A7A0B3D
	v_mul_f32_e32 v62, v62, v6                                 // 000000005570: 0A7C0D3E
	v_mul_f32_e32 v63, v63, v7                                 // 000000005574: 0A7E0F3F
	v_mul_f32_e32 v60, v60, v156                               // 000000005578: 0A79393C
	v_mul_f32_e32 v61, v61, v157                               // 00000000557C: 0A7B3B3D
	v_mul_f32_e32 v62, v62, v158                               // 000000005580: 0A7D3D3E
	v_mul_f32_e32 v63, v63, v159                               // 000000005584: 0A7F3F3F
	v_pk_mul_f32 v[4:5], v[64:65], v[64:65]                    // 000000005588: D3B14004 18028140
	v_pk_mul_f32 v[6:7], v[66:67], v[66:67]                    // 000000005590: D3B14006 18028542
	v_pk_fma_f32 v[4:5], v[4:5], s[78:79], v[8:9]              // 000000005598: D3B04004 1C209D04
	v_pk_fma_f32 v[6:7], v[6:7], s[78:79], v[8:9]              // 0000000055A0: D3B04006 1C209D06
	v_pk_mul_f32 v[4:5], v[4:5], v[64:65]                      // 0000000055A8: D3B14004 18028104
	v_pk_mul_f32 v[6:7], v[6:7], v[66:67]                      // 0000000055B0: D3B14006 18028506
	v_pk_mul_f32 v[4:5], v[4:5], s[60:61]                      // 0000000055B8: D3B14004 18007904
	v_pk_mul_f32 v[6:7], v[6:7], s[60:61]                      // 0000000055C0: D3B14006 18007906
	v_exp_f32_e32 v4, v4                                       // 0000000055C8: 7E084104
	v_exp_f32_e32 v5, v5                                       // 0000000055CC: 7E0A4105
	v_exp_f32_e32 v6, v6                                       // 0000000055D0: 7E0C4106
	v_exp_f32_e32 v7, v7                                       // 0000000055D4: 7E0E4107
	v_add_f32_e64 v4, v4, 1.0                                  // 0000000055D8: D1010004 0001E504
	v_add_f32_e64 v5, v5, 1.0                                  // 0000000055E0: D1010005 0001E505
	v_add_f32_e64 v6, v6, 1.0                                  // 0000000055E8: D1010006 0001E506
	v_add_f32_e64 v7, v7, 1.0                                  // 0000000055F0: D1010007 0001E507
	v_rcp_f32_e32 v4, v4                                       // 0000000055F8: 7E084504
	v_rcp_f32_e32 v5, v5                                       // 0000000055FC: 7E0A4505
	v_rcp_f32_e32 v6, v6                                       // 000000005600: 7E0C4506
	v_rcp_f32_e32 v7, v7                                       // 000000005604: 7E0E4507
	v_mul_f32_e32 v64, v64, v4                                 // 000000005608: 0A800940
	v_mul_f32_e32 v65, v65, v5                                 // 00000000560C: 0A820B41
	v_mul_f32_e32 v66, v66, v6                                 // 000000005610: 0A840D42
	v_mul_f32_e32 v67, v67, v7                                 // 000000005614: 0A860F43
	v_mul_f32_e32 v64, v64, v160                               // 000000005618: 0A814140
	v_mul_f32_e32 v65, v65, v161                               // 00000000561C: 0A834341
	v_mul_f32_e32 v66, v66, v162                               // 000000005620: 0A854542
	v_mul_f32_e32 v67, v67, v163                               // 000000005624: 0A874743
	v_pk_mul_f32 v[4:5], v[68:69], v[68:69]                    // 000000005628: D3B14004 18028944
	v_pk_mul_f32 v[6:7], v[70:71], v[70:71]                    // 000000005630: D3B14006 18028D46
	v_pk_fma_f32 v[4:5], v[4:5], s[78:79], v[8:9]              // 000000005638: D3B04004 1C209D04
	v_pk_fma_f32 v[6:7], v[6:7], s[78:79], v[8:9]              // 000000005640: D3B04006 1C209D06
	v_pk_mul_f32 v[4:5], v[4:5], v[68:69]                      // 000000005648: D3B14004 18028904
	v_pk_mul_f32 v[6:7], v[6:7], v[70:71]                      // 000000005650: D3B14006 18028D06
	v_pk_mul_f32 v[4:5], v[4:5], s[60:61]                      // 000000005658: D3B14004 18007904
	v_pk_mul_f32 v[6:7], v[6:7], s[60:61]                      // 000000005660: D3B14006 18007906
	v_exp_f32_e32 v4, v4                                       // 000000005668: 7E084104
	v_exp_f32_e32 v5, v5                                       // 00000000566C: 7E0A4105
	v_exp_f32_e32 v6, v6                                       // 000000005670: 7E0C4106
	v_exp_f32_e32 v7, v7                                       // 000000005674: 7E0E4107
	v_add_f32_e64 v4, v4, 1.0                                  // 000000005678: D1010004 0001E504
	v_add_f32_e64 v5, v5, 1.0                                  // 000000005680: D1010005 0001E505
	v_add_f32_e64 v6, v6, 1.0                                  // 000000005688: D1010006 0001E506
	v_add_f32_e64 v7, v7, 1.0                                  // 000000005690: D1010007 0001E507
	v_rcp_f32_e32 v4, v4                                       // 000000005698: 7E084504
	v_rcp_f32_e32 v5, v5                                       // 00000000569C: 7E0A4505
	v_rcp_f32_e32 v6, v6                                       // 0000000056A0: 7E0C4506
	v_rcp_f32_e32 v7, v7                                       // 0000000056A4: 7E0E4507
	v_mul_f32_e32 v68, v68, v4                                 // 0000000056A8: 0A880944
	v_mul_f32_e32 v69, v69, v5                                 // 0000000056AC: 0A8A0B45
	v_mul_f32_e32 v70, v70, v6                                 // 0000000056B0: 0A8C0D46
	v_mul_f32_e32 v71, v71, v7                                 // 0000000056B4: 0A8E0F47
	v_mul_f32_e32 v68, v68, v164                               // 0000000056B8: 0A894944
	v_mul_f32_e32 v69, v69, v165                               // 0000000056BC: 0A8B4B45
	v_mul_f32_e32 v70, v70, v166                               // 0000000056C0: 0A8D4D46
	v_mul_f32_e32 v71, v71, v167                               // 0000000056C4: 0A8F4F47
	v_pk_mul_f32 v[4:5], v[72:73], v[72:73]                    // 0000000056C8: D3B14004 18029148
	v_pk_mul_f32 v[6:7], v[74:75], v[74:75]                    // 0000000056D0: D3B14006 1802954A
	v_pk_fma_f32 v[4:5], v[4:5], s[78:79], v[8:9]              // 0000000056D8: D3B04004 1C209D04
	v_pk_fma_f32 v[6:7], v[6:7], s[78:79], v[8:9]              // 0000000056E0: D3B04006 1C209D06
	v_pk_mul_f32 v[4:5], v[4:5], v[72:73]                      // 0000000056E8: D3B14004 18029104
	v_pk_mul_f32 v[6:7], v[6:7], v[74:75]                      // 0000000056F0: D3B14006 18029506
	v_pk_mul_f32 v[4:5], v[4:5], s[60:61]                      // 0000000056F8: D3B14004 18007904
	v_pk_mul_f32 v[6:7], v[6:7], s[60:61]                      // 000000005700: D3B14006 18007906
	v_exp_f32_e32 v4, v4                                       // 000000005708: 7E084104
	v_exp_f32_e32 v5, v5                                       // 00000000570C: 7E0A4105
	v_exp_f32_e32 v6, v6                                       // 000000005710: 7E0C4106
	v_exp_f32_e32 v7, v7                                       // 000000005714: 7E0E4107
	v_add_f32_e64 v4, v4, 1.0                                  // 000000005718: D1010004 0001E504
	v_add_f32_e64 v5, v5, 1.0                                  // 000000005720: D1010005 0001E505
	v_add_f32_e64 v6, v6, 1.0                                  // 000000005728: D1010006 0001E506
	v_add_f32_e64 v7, v7, 1.0                                  // 000000005730: D1010007 0001E507
	v_rcp_f32_e32 v4, v4                                       // 000000005738: 7E084504
	v_rcp_f32_e32 v5, v5                                       // 00000000573C: 7E0A4505
	v_rcp_f32_e32 v6, v6                                       // 000000005740: 7E0C4506
	v_rcp_f32_e32 v7, v7                                       // 000000005744: 7E0E4507
	v_mul_f32_e32 v72, v72, v4                                 // 000000005748: 0A900948
	v_mul_f32_e32 v73, v73, v5                                 // 00000000574C: 0A920B49
	v_mul_f32_e32 v74, v74, v6                                 // 000000005750: 0A940D4A
	v_mul_f32_e32 v75, v75, v7                                 // 000000005754: 0A960F4B
	v_mul_f32_e32 v72, v72, v168                               // 000000005758: 0A915148
	v_mul_f32_e32 v73, v73, v169                               // 00000000575C: 0A935349
	v_mul_f32_e32 v74, v74, v170                               // 000000005760: 0A95554A
	v_mul_f32_e32 v75, v75, v171                               // 000000005764: 0A97574B
	v_pk_mul_f32 v[4:5], v[76:77], v[76:77]                    // 000000005768: D3B14004 1802994C
	v_pk_mul_f32 v[6:7], v[78:79], v[78:79]                    // 000000005770: D3B14006 18029D4E
	v_pk_fma_f32 v[4:5], v[4:5], s[78:79], v[8:9]              // 000000005778: D3B04004 1C209D04
	v_pk_fma_f32 v[6:7], v[6:7], s[78:79], v[8:9]              // 000000005780: D3B04006 1C209D06
	v_pk_mul_f32 v[4:5], v[4:5], v[76:77]                      // 000000005788: D3B14004 18029904
	v_pk_mul_f32 v[6:7], v[6:7], v[78:79]                      // 000000005790: D3B14006 18029D06
	v_pk_mul_f32 v[4:5], v[4:5], s[60:61]                      // 000000005798: D3B14004 18007904
	v_pk_mul_f32 v[6:7], v[6:7], s[60:61]                      // 0000000057A0: D3B14006 18007906
	v_exp_f32_e32 v4, v4                                       // 0000000057A8: 7E084104
	v_exp_f32_e32 v5, v5                                       // 0000000057AC: 7E0A4105
	v_exp_f32_e32 v6, v6                                       // 0000000057B0: 7E0C4106
	v_exp_f32_e32 v7, v7                                       // 0000000057B4: 7E0E4107
	v_add_f32_e64 v4, v4, 1.0                                  // 0000000057B8: D1010004 0001E504
	v_add_f32_e64 v5, v5, 1.0                                  // 0000000057C0: D1010005 0001E505
	v_add_f32_e64 v6, v6, 1.0                                  // 0000000057C8: D1010006 0001E506
	v_add_f32_e64 v7, v7, 1.0                                  // 0000000057D0: D1010007 0001E507
	v_rcp_f32_e32 v4, v4                                       // 0000000057D8: 7E084504
	v_rcp_f32_e32 v5, v5                                       // 0000000057DC: 7E0A4505
	v_rcp_f32_e32 v6, v6                                       // 0000000057E0: 7E0C4506
	v_rcp_f32_e32 v7, v7                                       // 0000000057E4: 7E0E4507
	v_mul_f32_e32 v76, v76, v4                                 // 0000000057E8: 0A98094C
	v_mul_f32_e32 v77, v77, v5                                 // 0000000057EC: 0A9A0B4D
	v_mul_f32_e32 v78, v78, v6                                 // 0000000057F0: 0A9C0D4E
	v_mul_f32_e32 v79, v79, v7                                 // 0000000057F4: 0A9E0F4F
	v_mul_f32_e32 v76, v76, v172                               // 0000000057F8: 0A99594C
	v_mul_f32_e32 v77, v77, v173                               // 0000000057FC: 0A9B5B4D
	v_mul_f32_e32 v78, v78, v174                               // 000000005800: 0A9D5D4E
	v_mul_f32_e32 v79, v79, v175                               // 000000005804: 0A9F5F4F
	v_pk_mul_f32 v[4:5], v[80:81], v[80:81]                    // 000000005808: D3B14004 1802A150
	v_pk_mul_f32 v[6:7], v[82:83], v[82:83]                    // 000000005810: D3B14006 1802A552
	v_pk_fma_f32 v[4:5], v[4:5], s[78:79], v[8:9]              // 000000005818: D3B04004 1C209D04
	v_pk_fma_f32 v[6:7], v[6:7], s[78:79], v[8:9]              // 000000005820: D3B04006 1C209D06
	v_pk_mul_f32 v[4:5], v[4:5], v[80:81]                      // 000000005828: D3B14004 1802A104
	v_pk_mul_f32 v[6:7], v[6:7], v[82:83]                      // 000000005830: D3B14006 1802A506
	v_pk_mul_f32 v[4:5], v[4:5], s[60:61]                      // 000000005838: D3B14004 18007904
	v_pk_mul_f32 v[6:7], v[6:7], s[60:61]                      // 000000005840: D3B14006 18007906
	v_exp_f32_e32 v4, v4                                       // 000000005848: 7E084104
	v_exp_f32_e32 v5, v5                                       // 00000000584C: 7E0A4105
	v_exp_f32_e32 v6, v6                                       // 000000005850: 7E0C4106
	v_exp_f32_e32 v7, v7                                       // 000000005854: 7E0E4107
	v_add_f32_e64 v4, v4, 1.0                                  // 000000005858: D1010004 0001E504
	v_add_f32_e64 v5, v5, 1.0                                  // 000000005860: D1010005 0001E505
	v_add_f32_e64 v6, v6, 1.0                                  // 000000005868: D1010006 0001E506
	v_add_f32_e64 v7, v7, 1.0                                  // 000000005870: D1010007 0001E507
	v_rcp_f32_e32 v4, v4                                       // 000000005878: 7E084504
	v_rcp_f32_e32 v5, v5                                       // 00000000587C: 7E0A4505
	v_rcp_f32_e32 v6, v6                                       // 000000005880: 7E0C4506
	v_rcp_f32_e32 v7, v7                                       // 000000005884: 7E0E4507
	v_mul_f32_e32 v80, v80, v4                                 // 000000005888: 0AA00950
	v_mul_f32_e32 v81, v81, v5                                 // 00000000588C: 0AA20B51
	v_mul_f32_e32 v82, v82, v6                                 // 000000005890: 0AA40D52
	v_mul_f32_e32 v83, v83, v7                                 // 000000005894: 0AA60F53
	v_mul_f32_e32 v80, v80, v176                               // 000000005898: 0AA16150
	v_mul_f32_e32 v81, v81, v177                               // 00000000589C: 0AA36351
	v_mul_f32_e32 v82, v82, v178                               // 0000000058A0: 0AA56552
	v_mul_f32_e32 v83, v83, v179                               // 0000000058A4: 0AA76753
	v_pk_mul_f32 v[4:5], v[84:85], v[84:85]                    // 0000000058A8: D3B14004 1802A954
	v_pk_mul_f32 v[6:7], v[86:87], v[86:87]                    // 0000000058B0: D3B14006 1802AD56
	v_pk_fma_f32 v[4:5], v[4:5], s[78:79], v[8:9]              // 0000000058B8: D3B04004 1C209D04
	v_pk_fma_f32 v[6:7], v[6:7], s[78:79], v[8:9]              // 0000000058C0: D3B04006 1C209D06
	v_pk_mul_f32 v[4:5], v[4:5], v[84:85]                      // 0000000058C8: D3B14004 1802A904
	v_pk_mul_f32 v[6:7], v[6:7], v[86:87]                      // 0000000058D0: D3B14006 1802AD06
	v_pk_mul_f32 v[4:5], v[4:5], s[60:61]                      // 0000000058D8: D3B14004 18007904
	v_pk_mul_f32 v[6:7], v[6:7], s[60:61]                      // 0000000058E0: D3B14006 18007906
	v_exp_f32_e32 v4, v4                                       // 0000000058E8: 7E084104
	v_exp_f32_e32 v5, v5                                       // 0000000058EC: 7E0A4105
	v_exp_f32_e32 v6, v6                                       // 0000000058F0: 7E0C4106
	v_exp_f32_e32 v7, v7                                       // 0000000058F4: 7E0E4107
	v_add_f32_e64 v4, v4, 1.0                                  // 0000000058F8: D1010004 0001E504
	v_add_f32_e64 v5, v5, 1.0                                  // 000000005900: D1010005 0001E505
	v_add_f32_e64 v6, v6, 1.0                                  // 000000005908: D1010006 0001E506
	v_add_f32_e64 v7, v7, 1.0                                  // 000000005910: D1010007 0001E507
	v_rcp_f32_e32 v4, v4                                       // 000000005918: 7E084504
	v_rcp_f32_e32 v5, v5                                       // 00000000591C: 7E0A4505
	v_rcp_f32_e32 v6, v6                                       // 000000005920: 7E0C4506
	v_rcp_f32_e32 v7, v7                                       // 000000005924: 7E0E4507
	v_mul_f32_e32 v84, v84, v4                                 // 000000005928: 0AA80954
	v_mul_f32_e32 v85, v85, v5                                 // 00000000592C: 0AAA0B55
	v_mul_f32_e32 v86, v86, v6                                 // 000000005930: 0AAC0D56
	v_mul_f32_e32 v87, v87, v7                                 // 000000005934: 0AAE0F57
	v_mul_f32_e32 v84, v84, v180                               // 000000005938: 0AA96954
	v_mul_f32_e32 v85, v85, v181                               // 00000000593C: 0AAB6B55
	v_mul_f32_e32 v86, v86, v182                               // 000000005940: 0AAD6D56
	v_mul_f32_e32 v87, v87, v183                               // 000000005944: 0AAF6F57
	v_pk_mul_f32 v[4:5], v[88:89], v[88:89]                    // 000000005948: D3B14004 1802B158
	v_pk_mul_f32 v[6:7], v[90:91], v[90:91]                    // 000000005950: D3B14006 1802B55A
	v_pk_fma_f32 v[4:5], v[4:5], s[78:79], v[8:9]              // 000000005958: D3B04004 1C209D04
	v_pk_fma_f32 v[6:7], v[6:7], s[78:79], v[8:9]              // 000000005960: D3B04006 1C209D06
	v_pk_mul_f32 v[4:5], v[4:5], v[88:89]                      // 000000005968: D3B14004 1802B104
	v_pk_mul_f32 v[6:7], v[6:7], v[90:91]                      // 000000005970: D3B14006 1802B506
	v_pk_mul_f32 v[4:5], v[4:5], s[60:61]                      // 000000005978: D3B14004 18007904
	v_pk_mul_f32 v[6:7], v[6:7], s[60:61]                      // 000000005980: D3B14006 18007906
	v_exp_f32_e32 v4, v4                                       // 000000005988: 7E084104
	v_exp_f32_e32 v5, v5                                       // 00000000598C: 7E0A4105
	v_exp_f32_e32 v6, v6                                       // 000000005990: 7E0C4106
	v_exp_f32_e32 v7, v7                                       // 000000005994: 7E0E4107
	v_add_f32_e64 v4, v4, 1.0                                  // 000000005998: D1010004 0001E504
	v_add_f32_e64 v5, v5, 1.0                                  // 0000000059A0: D1010005 0001E505
	v_add_f32_e64 v6, v6, 1.0                                  // 0000000059A8: D1010006 0001E506
	v_add_f32_e64 v7, v7, 1.0                                  // 0000000059B0: D1010007 0001E507
	v_rcp_f32_e32 v4, v4                                       // 0000000059B8: 7E084504
	v_rcp_f32_e32 v5, v5                                       // 0000000059BC: 7E0A4505
	v_rcp_f32_e32 v6, v6                                       // 0000000059C0: 7E0C4506
	v_rcp_f32_e32 v7, v7                                       // 0000000059C4: 7E0E4507
	v_mul_f32_e32 v88, v88, v4                                 // 0000000059C8: 0AB00958
	v_mul_f32_e32 v89, v89, v5                                 // 0000000059CC: 0AB20B59
	v_mul_f32_e32 v90, v90, v6                                 // 0000000059D0: 0AB40D5A
	v_mul_f32_e32 v91, v91, v7                                 // 0000000059D4: 0AB60F5B
	v_mul_f32_e32 v88, v88, v184                               // 0000000059D8: 0AB17158
	v_mul_f32_e32 v89, v89, v185                               // 0000000059DC: 0AB37359
	v_mul_f32_e32 v90, v90, v186                               // 0000000059E0: 0AB5755A
	v_mul_f32_e32 v91, v91, v187                               // 0000000059E4: 0AB7775B
	v_pk_mul_f32 v[4:5], v[92:93], v[92:93]                    // 0000000059E8: D3B14004 1802B95C
	v_pk_mul_f32 v[6:7], v[94:95], v[94:95]                    // 0000000059F0: D3B14006 1802BD5E
	v_pk_fma_f32 v[4:5], v[4:5], s[78:79], v[8:9]              // 0000000059F8: D3B04004 1C209D04
	v_pk_fma_f32 v[6:7], v[6:7], s[78:79], v[8:9]              // 000000005A00: D3B04006 1C209D06
	v_pk_mul_f32 v[4:5], v[4:5], v[92:93]                      // 000000005A08: D3B14004 1802B904
	v_pk_mul_f32 v[6:7], v[6:7], v[94:95]                      // 000000005A10: D3B14006 1802BD06
	v_pk_mul_f32 v[4:5], v[4:5], s[60:61]                      // 000000005A18: D3B14004 18007904
	v_pk_mul_f32 v[6:7], v[6:7], s[60:61]                      // 000000005A20: D3B14006 18007906
	v_exp_f32_e32 v4, v4                                       // 000000005A28: 7E084104
	v_exp_f32_e32 v5, v5                                       // 000000005A2C: 7E0A4105
	v_exp_f32_e32 v6, v6                                       // 000000005A30: 7E0C4106
	v_exp_f32_e32 v7, v7                                       // 000000005A34: 7E0E4107
	v_add_f32_e64 v4, v4, 1.0                                  // 000000005A38: D1010004 0001E504
	v_add_f32_e64 v5, v5, 1.0                                  // 000000005A40: D1010005 0001E505
	v_add_f32_e64 v6, v6, 1.0                                  // 000000005A48: D1010006 0001E506
	v_add_f32_e64 v7, v7, 1.0                                  // 000000005A50: D1010007 0001E507
	v_rcp_f32_e32 v4, v4                                       // 000000005A58: 7E084504
	v_rcp_f32_e32 v5, v5                                       // 000000005A5C: 7E0A4505
	v_rcp_f32_e32 v6, v6                                       // 000000005A60: 7E0C4506
	v_rcp_f32_e32 v7, v7                                       // 000000005A64: 7E0E4507
	v_mul_f32_e32 v92, v92, v4                                 // 000000005A68: 0AB8095C
	v_mul_f32_e32 v93, v93, v5                                 // 000000005A6C: 0ABA0B5D
	v_mul_f32_e32 v94, v94, v6                                 // 000000005A70: 0ABC0D5E
	v_mul_f32_e32 v95, v95, v7                                 // 000000005A74: 0ABE0F5F
	v_mul_f32_e32 v92, v92, v188                               // 000000005A78: 0AB9795C
	v_mul_f32_e32 v93, v93, v189                               // 000000005A7C: 0ABB7B5D
	v_mul_f32_e32 v94, v94, v190                               // 000000005A80: 0ABD7D5E
	v_mul_f32_e32 v95, v95, v191                               // 000000005A84: 0ABF7F5F
	v_pk_mul_f32 v[4:5], v[96:97], v[96:97]                    // 000000005A88: D3B14004 1802C160
	v_pk_mul_f32 v[6:7], v[98:99], v[98:99]                    // 000000005A90: D3B14006 1802C562
	v_pk_fma_f32 v[4:5], v[4:5], s[78:79], v[8:9]              // 000000005A98: D3B04004 1C209D04
	v_pk_fma_f32 v[6:7], v[6:7], s[78:79], v[8:9]              // 000000005AA0: D3B04006 1C209D06
	v_pk_mul_f32 v[4:5], v[4:5], v[96:97]                      // 000000005AA8: D3B14004 1802C104
	v_pk_mul_f32 v[6:7], v[6:7], v[98:99]                      // 000000005AB0: D3B14006 1802C506
	v_pk_mul_f32 v[4:5], v[4:5], s[60:61]                      // 000000005AB8: D3B14004 18007904
	v_pk_mul_f32 v[6:7], v[6:7], s[60:61]                      // 000000005AC0: D3B14006 18007906
	v_exp_f32_e32 v4, v4                                       // 000000005AC8: 7E084104
	v_exp_f32_e32 v5, v5                                       // 000000005ACC: 7E0A4105
	v_exp_f32_e32 v6, v6                                       // 000000005AD0: 7E0C4106
	v_exp_f32_e32 v7, v7                                       // 000000005AD4: 7E0E4107
	v_add_f32_e64 v4, v4, 1.0                                  // 000000005AD8: D1010004 0001E504
	v_add_f32_e64 v5, v5, 1.0                                  // 000000005AE0: D1010005 0001E505
	v_add_f32_e64 v6, v6, 1.0                                  // 000000005AE8: D1010006 0001E506
	v_add_f32_e64 v7, v7, 1.0                                  // 000000005AF0: D1010007 0001E507
	v_rcp_f32_e32 v4, v4                                       // 000000005AF8: 7E084504
	v_rcp_f32_e32 v5, v5                                       // 000000005AFC: 7E0A4505
	v_rcp_f32_e32 v6, v6                                       // 000000005B00: 7E0C4506
	v_rcp_f32_e32 v7, v7                                       // 000000005B04: 7E0E4507
	v_mul_f32_e32 v96, v96, v4                                 // 000000005B08: 0AC00960
	v_mul_f32_e32 v97, v97, v5                                 // 000000005B0C: 0AC20B61
	v_mul_f32_e32 v98, v98, v6                                 // 000000005B10: 0AC40D62
	v_mul_f32_e32 v99, v99, v7                                 // 000000005B14: 0AC60F63
	v_mul_f32_e32 v96, v96, v192                               // 000000005B18: 0AC18160
	v_mul_f32_e32 v97, v97, v193                               // 000000005B1C: 0AC38361
	v_mul_f32_e32 v98, v98, v194                               // 000000005B20: 0AC58562
	v_mul_f32_e32 v99, v99, v195                               // 000000005B24: 0AC78763
	v_pk_mul_f32 v[4:5], v[100:101], v[100:101]                // 000000005B28: D3B14004 1802C964
	v_pk_mul_f32 v[6:7], v[102:103], v[102:103]                // 000000005B30: D3B14006 1802CD66
	v_pk_fma_f32 v[4:5], v[4:5], s[78:79], v[8:9]              // 000000005B38: D3B04004 1C209D04
	v_pk_fma_f32 v[6:7], v[6:7], s[78:79], v[8:9]              // 000000005B40: D3B04006 1C209D06
	v_pk_mul_f32 v[4:5], v[4:5], v[100:101]                    // 000000005B48: D3B14004 1802C904
	v_pk_mul_f32 v[6:7], v[6:7], v[102:103]                    // 000000005B50: D3B14006 1802CD06
	v_pk_mul_f32 v[4:5], v[4:5], s[60:61]                      // 000000005B58: D3B14004 18007904
	v_pk_mul_f32 v[6:7], v[6:7], s[60:61]                      // 000000005B60: D3B14006 18007906
	v_exp_f32_e32 v4, v4                                       // 000000005B68: 7E084104
	v_exp_f32_e32 v5, v5                                       // 000000005B6C: 7E0A4105
	v_exp_f32_e32 v6, v6                                       // 000000005B70: 7E0C4106
	v_exp_f32_e32 v7, v7                                       // 000000005B74: 7E0E4107
	v_add_f32_e64 v4, v4, 1.0                                  // 000000005B78: D1010004 0001E504
	v_add_f32_e64 v5, v5, 1.0                                  // 000000005B80: D1010005 0001E505
	v_add_f32_e64 v6, v6, 1.0                                  // 000000005B88: D1010006 0001E506
	v_add_f32_e64 v7, v7, 1.0                                  // 000000005B90: D1010007 0001E507
	v_rcp_f32_e32 v4, v4                                       // 000000005B98: 7E084504
	v_rcp_f32_e32 v5, v5                                       // 000000005B9C: 7E0A4505
	v_rcp_f32_e32 v6, v6                                       // 000000005BA0: 7E0C4506
	v_rcp_f32_e32 v7, v7                                       // 000000005BA4: 7E0E4507
	v_mul_f32_e32 v100, v100, v4                               // 000000005BA8: 0AC80964
	v_mul_f32_e32 v101, v101, v5                               // 000000005BAC: 0ACA0B65
	v_mul_f32_e32 v102, v102, v6                               // 000000005BB0: 0ACC0D66
	v_mul_f32_e32 v103, v103, v7                               // 000000005BB4: 0ACE0F67
	v_mul_f32_e32 v100, v100, v196                             // 000000005BB8: 0AC98964
	v_mul_f32_e32 v101, v101, v197                             // 000000005BBC: 0ACB8B65
	v_mul_f32_e32 v102, v102, v198                             // 000000005BC0: 0ACD8D66
	v_mul_f32_e32 v103, v103, v199                             // 000000005BC4: 0ACF8F67
	v_pk_mul_f32 v[4:5], v[104:105], v[104:105]                // 000000005BC8: D3B14004 1802D168
	v_pk_mul_f32 v[6:7], v[106:107], v[106:107]                // 000000005BD0: D3B14006 1802D56A
	v_pk_fma_f32 v[4:5], v[4:5], s[78:79], v[8:9]              // 000000005BD8: D3B04004 1C209D04
	v_pk_fma_f32 v[6:7], v[6:7], s[78:79], v[8:9]              // 000000005BE0: D3B04006 1C209D06
	v_pk_mul_f32 v[4:5], v[4:5], v[104:105]                    // 000000005BE8: D3B14004 1802D104
	v_pk_mul_f32 v[6:7], v[6:7], v[106:107]                    // 000000005BF0: D3B14006 1802D506
	v_pk_mul_f32 v[4:5], v[4:5], s[60:61]                      // 000000005BF8: D3B14004 18007904
	v_pk_mul_f32 v[6:7], v[6:7], s[60:61]                      // 000000005C00: D3B14006 18007906
	v_exp_f32_e32 v4, v4                                       // 000000005C08: 7E084104
	v_exp_f32_e32 v5, v5                                       // 000000005C0C: 7E0A4105
	v_exp_f32_e32 v6, v6                                       // 000000005C10: 7E0C4106
	v_exp_f32_e32 v7, v7                                       // 000000005C14: 7E0E4107
	v_add_f32_e64 v4, v4, 1.0                                  // 000000005C18: D1010004 0001E504
	v_add_f32_e64 v5, v5, 1.0                                  // 000000005C20: D1010005 0001E505
	v_add_f32_e64 v6, v6, 1.0                                  // 000000005C28: D1010006 0001E506
	v_add_f32_e64 v7, v7, 1.0                                  // 000000005C30: D1010007 0001E507
	v_rcp_f32_e32 v4, v4                                       // 000000005C38: 7E084504
	v_rcp_f32_e32 v5, v5                                       // 000000005C3C: 7E0A4505
	v_rcp_f32_e32 v6, v6                                       // 000000005C40: 7E0C4506
	v_rcp_f32_e32 v7, v7                                       // 000000005C44: 7E0E4507
	v_mul_f32_e32 v104, v104, v4                               // 000000005C48: 0AD00968
	v_mul_f32_e32 v105, v105, v5                               // 000000005C4C: 0AD20B69
	v_mul_f32_e32 v106, v106, v6                               // 000000005C50: 0AD40D6A
	v_mul_f32_e32 v107, v107, v7                               // 000000005C54: 0AD60F6B
	v_mul_f32_e32 v104, v104, v200                             // 000000005C58: 0AD19168
	v_mul_f32_e32 v105, v105, v201                             // 000000005C5C: 0AD39369
	v_mul_f32_e32 v106, v106, v202                             // 000000005C60: 0AD5956A
	v_mul_f32_e32 v107, v107, v203                             // 000000005C64: 0AD7976B
	v_pk_mul_f32 v[4:5], v[108:109], v[108:109]                // 000000005C68: D3B14004 1802D96C
	v_pk_mul_f32 v[6:7], v[110:111], v[110:111]                // 000000005C70: D3B14006 1802DD6E
	v_pk_fma_f32 v[4:5], v[4:5], s[78:79], v[8:9]              // 000000005C78: D3B04004 1C209D04
	v_pk_fma_f32 v[6:7], v[6:7], s[78:79], v[8:9]              // 000000005C80: D3B04006 1C209D06
	v_pk_mul_f32 v[4:5], v[4:5], v[108:109]                    // 000000005C88: D3B14004 1802D904
	v_pk_mul_f32 v[6:7], v[6:7], v[110:111]                    // 000000005C90: D3B14006 1802DD06
	v_pk_mul_f32 v[4:5], v[4:5], s[60:61]                      // 000000005C98: D3B14004 18007904
	v_pk_mul_f32 v[6:7], v[6:7], s[60:61]                      // 000000005CA0: D3B14006 18007906
	v_exp_f32_e32 v4, v4                                       // 000000005CA8: 7E084104
	v_exp_f32_e32 v5, v5                                       // 000000005CAC: 7E0A4105
	v_exp_f32_e32 v6, v6                                       // 000000005CB0: 7E0C4106
	v_exp_f32_e32 v7, v7                                       // 000000005CB4: 7E0E4107
	v_add_f32_e64 v4, v4, 1.0                                  // 000000005CB8: D1010004 0001E504
	v_add_f32_e64 v5, v5, 1.0                                  // 000000005CC0: D1010005 0001E505
	v_add_f32_e64 v6, v6, 1.0                                  // 000000005CC8: D1010006 0001E506
	v_add_f32_e64 v7, v7, 1.0                                  // 000000005CD0: D1010007 0001E507
	v_rcp_f32_e32 v4, v4                                       // 000000005CD8: 7E084504
	v_rcp_f32_e32 v5, v5                                       // 000000005CDC: 7E0A4505
	v_rcp_f32_e32 v6, v6                                       // 000000005CE0: 7E0C4506
	v_rcp_f32_e32 v7, v7                                       // 000000005CE4: 7E0E4507
	v_mul_f32_e32 v108, v108, v4                               // 000000005CE8: 0AD8096C
	v_mul_f32_e32 v109, v109, v5                               // 000000005CEC: 0ADA0B6D
	v_mul_f32_e32 v110, v110, v6                               // 000000005CF0: 0ADC0D6E
	v_mul_f32_e32 v111, v111, v7                               // 000000005CF4: 0ADE0F6F
	v_mul_f32_e32 v108, v108, v204                             // 000000005CF8: 0AD9996C
	v_mul_f32_e32 v109, v109, v205                             // 000000005CFC: 0ADB9B6D
	v_mul_f32_e32 v110, v110, v206                             // 000000005D00: 0ADD9D6E
	v_mul_f32_e32 v111, v111, v207                             // 000000005D04: 0ADF9F6F
	v_pk_mul_f32 v[4:5], v[112:113], v[112:113]                // 000000005D08: D3B14004 1802E170
	v_pk_mul_f32 v[6:7], v[114:115], v[114:115]                // 000000005D10: D3B14006 1802E572
	v_pk_fma_f32 v[4:5], v[4:5], s[78:79], v[8:9]              // 000000005D18: D3B04004 1C209D04
	v_pk_fma_f32 v[6:7], v[6:7], s[78:79], v[8:9]              // 000000005D20: D3B04006 1C209D06
	v_pk_mul_f32 v[4:5], v[4:5], v[112:113]                    // 000000005D28: D3B14004 1802E104
	v_pk_mul_f32 v[6:7], v[6:7], v[114:115]                    // 000000005D30: D3B14006 1802E506
	v_pk_mul_f32 v[4:5], v[4:5], s[60:61]                      // 000000005D38: D3B14004 18007904
	v_pk_mul_f32 v[6:7], v[6:7], s[60:61]                      // 000000005D40: D3B14006 18007906
	v_exp_f32_e32 v4, v4                                       // 000000005D48: 7E084104
	v_exp_f32_e32 v5, v5                                       // 000000005D4C: 7E0A4105
	v_exp_f32_e32 v6, v6                                       // 000000005D50: 7E0C4106
	v_exp_f32_e32 v7, v7                                       // 000000005D54: 7E0E4107
	v_add_f32_e64 v4, v4, 1.0                                  // 000000005D58: D1010004 0001E504
	v_add_f32_e64 v5, v5, 1.0                                  // 000000005D60: D1010005 0001E505
	v_add_f32_e64 v6, v6, 1.0                                  // 000000005D68: D1010006 0001E506
	v_add_f32_e64 v7, v7, 1.0                                  // 000000005D70: D1010007 0001E507
	v_rcp_f32_e32 v4, v4                                       // 000000005D78: 7E084504
	v_rcp_f32_e32 v5, v5                                       // 000000005D7C: 7E0A4505
	v_rcp_f32_e32 v6, v6                                       // 000000005D80: 7E0C4506
	v_rcp_f32_e32 v7, v7                                       // 000000005D84: 7E0E4507
	v_mul_f32_e32 v112, v112, v4                               // 000000005D88: 0AE00970
	v_mul_f32_e32 v113, v113, v5                               // 000000005D8C: 0AE20B71
	v_mul_f32_e32 v114, v114, v6                               // 000000005D90: 0AE40D72
	v_mul_f32_e32 v115, v115, v7                               // 000000005D94: 0AE60F73
	v_mul_f32_e32 v112, v112, v208                             // 000000005D98: 0AE1A170
	v_mul_f32_e32 v113, v113, v209                             // 000000005D9C: 0AE3A371
	v_mul_f32_e32 v114, v114, v210                             // 000000005DA0: 0AE5A572
	v_mul_f32_e32 v115, v115, v211                             // 000000005DA4: 0AE7A773
	v_pk_mul_f32 v[4:5], v[116:117], v[116:117]                // 000000005DA8: D3B14004 1802E974
	v_pk_mul_f32 v[6:7], v[118:119], v[118:119]                // 000000005DB0: D3B14006 1802ED76
	v_pk_fma_f32 v[4:5], v[4:5], s[78:79], v[8:9]              // 000000005DB8: D3B04004 1C209D04
	v_pk_fma_f32 v[6:7], v[6:7], s[78:79], v[8:9]              // 000000005DC0: D3B04006 1C209D06
	v_pk_mul_f32 v[4:5], v[4:5], v[116:117]                    // 000000005DC8: D3B14004 1802E904
	v_pk_mul_f32 v[6:7], v[6:7], v[118:119]                    // 000000005DD0: D3B14006 1802ED06
	v_pk_mul_f32 v[4:5], v[4:5], s[60:61]                      // 000000005DD8: D3B14004 18007904
	v_pk_mul_f32 v[6:7], v[6:7], s[60:61]                      // 000000005DE0: D3B14006 18007906
	v_exp_f32_e32 v4, v4                                       // 000000005DE8: 7E084104
	v_exp_f32_e32 v5, v5                                       // 000000005DEC: 7E0A4105
	v_exp_f32_e32 v6, v6                                       // 000000005DF0: 7E0C4106
	v_exp_f32_e32 v7, v7                                       // 000000005DF4: 7E0E4107
	v_add_f32_e64 v4, v4, 1.0                                  // 000000005DF8: D1010004 0001E504
	v_add_f32_e64 v5, v5, 1.0                                  // 000000005E00: D1010005 0001E505
	v_add_f32_e64 v6, v6, 1.0                                  // 000000005E08: D1010006 0001E506
	v_add_f32_e64 v7, v7, 1.0                                  // 000000005E10: D1010007 0001E507
	v_rcp_f32_e32 v4, v4                                       // 000000005E18: 7E084504
	v_rcp_f32_e32 v5, v5                                       // 000000005E1C: 7E0A4505
	v_rcp_f32_e32 v6, v6                                       // 000000005E20: 7E0C4506
	v_rcp_f32_e32 v7, v7                                       // 000000005E24: 7E0E4507
	v_mul_f32_e32 v116, v116, v4                               // 000000005E28: 0AE80974
	v_mul_f32_e32 v117, v117, v5                               // 000000005E2C: 0AEA0B75
	v_mul_f32_e32 v118, v118, v6                               // 000000005E30: 0AEC0D76
	v_mul_f32_e32 v119, v119, v7                               // 000000005E34: 0AEE0F77
	v_mul_f32_e32 v116, v116, v212                             // 000000005E38: 0AE9A974
	v_mul_f32_e32 v117, v117, v213                             // 000000005E3C: 0AEBAB75
	v_mul_f32_e32 v118, v118, v214                             // 000000005E40: 0AEDAD76
	v_mul_f32_e32 v119, v119, v215                             // 000000005E44: 0AEFAF77
	v_pk_mul_f32 v[4:5], v[120:121], v[120:121]                // 000000005E48: D3B14004 1802F178
	v_pk_mul_f32 v[6:7], v[122:123], v[122:123]                // 000000005E50: D3B14006 1802F57A
	v_pk_fma_f32 v[4:5], v[4:5], s[78:79], v[8:9]              // 000000005E58: D3B04004 1C209D04
	v_pk_fma_f32 v[6:7], v[6:7], s[78:79], v[8:9]              // 000000005E60: D3B04006 1C209D06
	v_pk_mul_f32 v[4:5], v[4:5], v[120:121]                    // 000000005E68: D3B14004 1802F104
	v_pk_mul_f32 v[6:7], v[6:7], v[122:123]                    // 000000005E70: D3B14006 1802F506
	v_pk_mul_f32 v[4:5], v[4:5], s[60:61]                      // 000000005E78: D3B14004 18007904
	v_pk_mul_f32 v[6:7], v[6:7], s[60:61]                      // 000000005E80: D3B14006 18007906
	v_exp_f32_e32 v4, v4                                       // 000000005E88: 7E084104
	v_exp_f32_e32 v5, v5                                       // 000000005E8C: 7E0A4105
	v_exp_f32_e32 v6, v6                                       // 000000005E90: 7E0C4106
	v_exp_f32_e32 v7, v7                                       // 000000005E94: 7E0E4107
	v_add_f32_e64 v4, v4, 1.0                                  // 000000005E98: D1010004 0001E504
	v_add_f32_e64 v5, v5, 1.0                                  // 000000005EA0: D1010005 0001E505
	v_add_f32_e64 v6, v6, 1.0                                  // 000000005EA8: D1010006 0001E506
	v_add_f32_e64 v7, v7, 1.0                                  // 000000005EB0: D1010007 0001E507
	v_rcp_f32_e32 v4, v4                                       // 000000005EB8: 7E084504
	v_rcp_f32_e32 v5, v5                                       // 000000005EBC: 7E0A4505
	v_rcp_f32_e32 v6, v6                                       // 000000005EC0: 7E0C4506
	v_rcp_f32_e32 v7, v7                                       // 000000005EC4: 7E0E4507
	v_mul_f32_e32 v120, v120, v4                               // 000000005EC8: 0AF00978
	v_mul_f32_e32 v121, v121, v5                               // 000000005ECC: 0AF20B79
	v_mul_f32_e32 v122, v122, v6                               // 000000005ED0: 0AF40D7A
	v_mul_f32_e32 v123, v123, v7                               // 000000005ED4: 0AF60F7B
	v_mul_f32_e32 v120, v120, v216                             // 000000005ED8: 0AF1B178
	v_mul_f32_e32 v121, v121, v217                             // 000000005EDC: 0AF3B379
	v_mul_f32_e32 v122, v122, v218                             // 000000005EE0: 0AF5B57A
	v_mul_f32_e32 v123, v123, v219                             // 000000005EE4: 0AF7B77B
	v_pk_mul_f32 v[4:5], v[124:125], v[124:125]                // 000000005EE8: D3B14004 1802F97C
	v_pk_mul_f32 v[6:7], v[126:127], v[126:127]                // 000000005EF0: D3B14006 1802FD7E
	v_pk_fma_f32 v[4:5], v[4:5], s[78:79], v[8:9]              // 000000005EF8: D3B04004 1C209D04
	v_pk_fma_f32 v[6:7], v[6:7], s[78:79], v[8:9]              // 000000005F00: D3B04006 1C209D06
	v_pk_mul_f32 v[4:5], v[4:5], v[124:125]                    // 000000005F08: D3B14004 1802F904
	v_pk_mul_f32 v[6:7], v[6:7], v[126:127]                    // 000000005F10: D3B14006 1802FD06
	v_pk_mul_f32 v[4:5], v[4:5], s[60:61]                      // 000000005F18: D3B14004 18007904
	v_pk_mul_f32 v[6:7], v[6:7], s[60:61]                      // 000000005F20: D3B14006 18007906
	v_exp_f32_e32 v4, v4                                       // 000000005F28: 7E084104
	v_exp_f32_e32 v5, v5                                       // 000000005F2C: 7E0A4105
	v_exp_f32_e32 v6, v6                                       // 000000005F30: 7E0C4106
	v_exp_f32_e32 v7, v7                                       // 000000005F34: 7E0E4107
	v_add_f32_e64 v4, v4, 1.0                                  // 000000005F38: D1010004 0001E504
	v_add_f32_e64 v5, v5, 1.0                                  // 000000005F40: D1010005 0001E505
	v_add_f32_e64 v6, v6, 1.0                                  // 000000005F48: D1010006 0001E506
	v_add_f32_e64 v7, v7, 1.0                                  // 000000005F50: D1010007 0001E507
	v_rcp_f32_e32 v4, v4                                       // 000000005F58: 7E084504
	v_rcp_f32_e32 v5, v5                                       // 000000005F5C: 7E0A4505
	v_rcp_f32_e32 v6, v6                                       // 000000005F60: 7E0C4506
	v_rcp_f32_e32 v7, v7                                       // 000000005F64: 7E0E4507
	v_mul_f32_e32 v124, v124, v4                               // 000000005F68: 0AF8097C
	v_mul_f32_e32 v125, v125, v5                               // 000000005F6C: 0AFA0B7D
	v_mul_f32_e32 v126, v126, v6                               // 000000005F70: 0AFC0D7E
	v_mul_f32_e32 v127, v127, v7                               // 000000005F74: 0AFE0F7F
	v_mul_f32_e32 v124, v124, v220                             // 000000005F78: 0AF9B97C
	v_mul_f32_e32 v125, v125, v221                             // 000000005F7C: 0AFBBB7D
	v_mul_f32_e32 v126, v126, v222                             // 000000005F80: 0AFDBD7E
	v_mul_f32_e32 v127, v127, v223                             // 000000005F84: 0AFFBF7F
	v_pk_mul_f32 v[4:5], v[128:129], v[128:129]                // 000000005F88: D3B14004 18030180
	v_pk_mul_f32 v[6:7], v[130:131], v[130:131]                // 000000005F90: D3B14006 18030582
	v_pk_fma_f32 v[4:5], v[4:5], s[78:79], v[8:9]              // 000000005F98: D3B04004 1C209D04
	v_pk_fma_f32 v[6:7], v[6:7], s[78:79], v[8:9]              // 000000005FA0: D3B04006 1C209D06
	v_pk_mul_f32 v[4:5], v[4:5], v[128:129]                    // 000000005FA8: D3B14004 18030104
	v_pk_mul_f32 v[6:7], v[6:7], v[130:131]                    // 000000005FB0: D3B14006 18030506
	v_pk_mul_f32 v[4:5], v[4:5], s[60:61]                      // 000000005FB8: D3B14004 18007904
	v_pk_mul_f32 v[6:7], v[6:7], s[60:61]                      // 000000005FC0: D3B14006 18007906
	v_exp_f32_e32 v4, v4                                       // 000000005FC8: 7E084104
	v_exp_f32_e32 v5, v5                                       // 000000005FCC: 7E0A4105
	v_exp_f32_e32 v6, v6                                       // 000000005FD0: 7E0C4106
	v_exp_f32_e32 v7, v7                                       // 000000005FD4: 7E0E4107
	v_add_f32_e64 v4, v4, 1.0                                  // 000000005FD8: D1010004 0001E504
	v_add_f32_e64 v5, v5, 1.0                                  // 000000005FE0: D1010005 0001E505
	v_add_f32_e64 v6, v6, 1.0                                  // 000000005FE8: D1010006 0001E506
	v_add_f32_e64 v7, v7, 1.0                                  // 000000005FF0: D1010007 0001E507
	v_rcp_f32_e32 v4, v4                                       // 000000005FF8: 7E084504
	v_rcp_f32_e32 v5, v5                                       // 000000005FFC: 7E0A4505
	v_rcp_f32_e32 v6, v6                                       // 000000006000: 7E0C4506
	v_rcp_f32_e32 v7, v7                                       // 000000006004: 7E0E4507
	v_mul_f32_e32 v128, v128, v4                               // 000000006008: 0B000980
	v_mul_f32_e32 v129, v129, v5                               // 00000000600C: 0B020B81
	v_mul_f32_e32 v130, v130, v6                               // 000000006010: 0B040D82
	v_mul_f32_e32 v131, v131, v7                               // 000000006014: 0B060F83
	v_mul_f32_e32 v128, v128, v224                             // 000000006018: 0B01C180
	v_mul_f32_e32 v129, v129, v225                             // 00000000601C: 0B03C381
	v_mul_f32_e32 v130, v130, v226                             // 000000006020: 0B05C582
	v_mul_f32_e32 v131, v131, v227                             // 000000006024: 0B07C783
	v_pk_mul_f32 v[4:5], v[132:133], v[132:133]                // 000000006028: D3B14004 18030984
	v_pk_mul_f32 v[6:7], v[134:135], v[134:135]                // 000000006030: D3B14006 18030D86
	v_pk_fma_f32 v[4:5], v[4:5], s[78:79], v[8:9]              // 000000006038: D3B04004 1C209D04
	v_pk_fma_f32 v[6:7], v[6:7], s[78:79], v[8:9]              // 000000006040: D3B04006 1C209D06
	v_pk_mul_f32 v[4:5], v[4:5], v[132:133]                    // 000000006048: D3B14004 18030904
	v_pk_mul_f32 v[6:7], v[6:7], v[134:135]                    // 000000006050: D3B14006 18030D06
	v_pk_mul_f32 v[4:5], v[4:5], s[60:61]                      // 000000006058: D3B14004 18007904
	v_pk_mul_f32 v[6:7], v[6:7], s[60:61]                      // 000000006060: D3B14006 18007906
	v_exp_f32_e32 v4, v4                                       // 000000006068: 7E084104
	v_exp_f32_e32 v5, v5                                       // 00000000606C: 7E0A4105
	v_exp_f32_e32 v6, v6                                       // 000000006070: 7E0C4106
	v_exp_f32_e32 v7, v7                                       // 000000006074: 7E0E4107
	v_add_f32_e64 v4, v4, 1.0                                  // 000000006078: D1010004 0001E504
	v_add_f32_e64 v5, v5, 1.0                                  // 000000006080: D1010005 0001E505
	v_add_f32_e64 v6, v6, 1.0                                  // 000000006088: D1010006 0001E506
	v_add_f32_e64 v7, v7, 1.0                                  // 000000006090: D1010007 0001E507
	v_rcp_f32_e32 v4, v4                                       // 000000006098: 7E084504
	v_rcp_f32_e32 v5, v5                                       // 00000000609C: 7E0A4505
	v_rcp_f32_e32 v6, v6                                       // 0000000060A0: 7E0C4506
	v_rcp_f32_e32 v7, v7                                       // 0000000060A4: 7E0E4507
	v_mul_f32_e32 v132, v132, v4                               // 0000000060A8: 0B080984
	v_mul_f32_e32 v133, v133, v5                               // 0000000060AC: 0B0A0B85
	v_mul_f32_e32 v134, v134, v6                               // 0000000060B0: 0B0C0D86
	v_mul_f32_e32 v135, v135, v7                               // 0000000060B4: 0B0E0F87
	v_mul_f32_e32 v132, v132, v228                             // 0000000060B8: 0B09C984
	v_mul_f32_e32 v133, v133, v229                             // 0000000060BC: 0B0BCB85
	v_mul_f32_e32 v134, v134, v230                             // 0000000060C0: 0B0DCD86
	v_mul_f32_e32 v135, v135, v231                             // 0000000060C4: 0B0FCF87
	v_pk_mul_f32 v[4:5], v[136:137], v[136:137]                // 0000000060C8: D3B14004 18031188
	v_pk_mul_f32 v[6:7], v[138:139], v[138:139]                // 0000000060D0: D3B14006 1803158A
	v_pk_fma_f32 v[4:5], v[4:5], s[78:79], v[8:9]              // 0000000060D8: D3B04004 1C209D04
	v_pk_fma_f32 v[6:7], v[6:7], s[78:79], v[8:9]              // 0000000060E0: D3B04006 1C209D06
	v_pk_mul_f32 v[4:5], v[4:5], v[136:137]                    // 0000000060E8: D3B14004 18031104
	v_pk_mul_f32 v[6:7], v[6:7], v[138:139]                    // 0000000060F0: D3B14006 18031506
	v_pk_mul_f32 v[4:5], v[4:5], s[60:61]                      // 0000000060F8: D3B14004 18007904
	v_pk_mul_f32 v[6:7], v[6:7], s[60:61]                      // 000000006100: D3B14006 18007906
	v_exp_f32_e32 v4, v4                                       // 000000006108: 7E084104
	v_exp_f32_e32 v5, v5                                       // 00000000610C: 7E0A4105
	v_exp_f32_e32 v6, v6                                       // 000000006110: 7E0C4106
	v_exp_f32_e32 v7, v7                                       // 000000006114: 7E0E4107
	v_add_f32_e64 v4, v4, 1.0                                  // 000000006118: D1010004 0001E504
	v_add_f32_e64 v5, v5, 1.0                                  // 000000006120: D1010005 0001E505
	v_add_f32_e64 v6, v6, 1.0                                  // 000000006128: D1010006 0001E506
	v_add_f32_e64 v7, v7, 1.0                                  // 000000006130: D1010007 0001E507
	v_rcp_f32_e32 v4, v4                                       // 000000006138: 7E084504
	v_rcp_f32_e32 v5, v5                                       // 00000000613C: 7E0A4505
	v_rcp_f32_e32 v6, v6                                       // 000000006140: 7E0C4506
	v_rcp_f32_e32 v7, v7                                       // 000000006144: 7E0E4507
	v_mul_f32_e32 v136, v136, v4                               // 000000006148: 0B100988
	v_mul_f32_e32 v137, v137, v5                               // 00000000614C: 0B120B89
	v_mul_f32_e32 v138, v138, v6                               // 000000006150: 0B140D8A
	v_mul_f32_e32 v139, v139, v7                               // 000000006154: 0B160F8B
	v_mul_f32_e32 v136, v136, v232                             // 000000006158: 0B11D188
	v_mul_f32_e32 v137, v137, v233                             // 00000000615C: 0B13D389
	v_mul_f32_e32 v138, v138, v234                             // 000000006160: 0B15D58A
	v_mul_f32_e32 v139, v139, v235                             // 000000006164: 0B17D78B
	v_pk_mul_f32 v[4:5], v[140:141], v[140:141]                // 000000006168: D3B14004 1803198C
	v_pk_mul_f32 v[6:7], v[142:143], v[142:143]                // 000000006170: D3B14006 18031D8E
	v_pk_fma_f32 v[4:5], v[4:5], s[78:79], v[8:9]              // 000000006178: D3B04004 1C209D04
	v_pk_fma_f32 v[6:7], v[6:7], s[78:79], v[8:9]              // 000000006180: D3B04006 1C209D06
	v_pk_mul_f32 v[4:5], v[4:5], v[140:141]                    // 000000006188: D3B14004 18031904
	v_pk_mul_f32 v[6:7], v[6:7], v[142:143]                    // 000000006190: D3B14006 18031D06
	v_pk_mul_f32 v[4:5], v[4:5], s[60:61]                      // 000000006198: D3B14004 18007904
	v_pk_mul_f32 v[6:7], v[6:7], s[60:61]                      // 0000000061A0: D3B14006 18007906
	v_exp_f32_e32 v4, v4                                       // 0000000061A8: 7E084104
	v_exp_f32_e32 v5, v5                                       // 0000000061AC: 7E0A4105
	v_exp_f32_e32 v6, v6                                       // 0000000061B0: 7E0C4106
	v_exp_f32_e32 v7, v7                                       // 0000000061B4: 7E0E4107
	v_add_f32_e64 v4, v4, 1.0                                  // 0000000061B8: D1010004 0001E504
	v_add_f32_e64 v5, v5, 1.0                                  // 0000000061C0: D1010005 0001E505
	v_add_f32_e64 v6, v6, 1.0                                  // 0000000061C8: D1010006 0001E506
	v_add_f32_e64 v7, v7, 1.0                                  // 0000000061D0: D1010007 0001E507
	v_rcp_f32_e32 v4, v4                                       // 0000000061D8: 7E084504
	v_rcp_f32_e32 v5, v5                                       // 0000000061DC: 7E0A4505
	v_rcp_f32_e32 v6, v6                                       // 0000000061E0: 7E0C4506
	v_rcp_f32_e32 v7, v7                                       // 0000000061E4: 7E0E4507
	v_mul_f32_e32 v140, v140, v4                               // 0000000061E8: 0B18098C
	v_mul_f32_e32 v141, v141, v5                               // 0000000061EC: 0B1A0B8D
	v_mul_f32_e32 v142, v142, v6                               // 0000000061F0: 0B1C0D8E
	v_mul_f32_e32 v143, v143, v7                               // 0000000061F4: 0B1E0F8F
	v_mul_f32_e32 v140, v140, v236                             // 0000000061F8: 0B19D98C
	v_mul_f32_e32 v141, v141, v237                             // 0000000061FC: 0B1BDB8D
	v_mul_f32_e32 v142, v142, v238                             // 000000006200: 0B1DDD8E
	v_mul_f32_e32 v143, v143, v239                             // 000000006204: 0B1FDF8F
	v_pk_mul_f32 v[4:5], v[144:145], v[144:145]                // 000000006208: D3B14004 18032190
	v_pk_mul_f32 v[6:7], v[146:147], v[146:147]                // 000000006210: D3B14006 18032592
	v_pk_fma_f32 v[4:5], v[4:5], s[78:79], v[8:9]              // 000000006218: D3B04004 1C209D04
	v_pk_fma_f32 v[6:7], v[6:7], s[78:79], v[8:9]              // 000000006220: D3B04006 1C209D06
	v_pk_mul_f32 v[4:5], v[4:5], v[144:145]                    // 000000006228: D3B14004 18032104
	v_pk_mul_f32 v[6:7], v[6:7], v[146:147]                    // 000000006230: D3B14006 18032506
	v_pk_mul_f32 v[4:5], v[4:5], s[60:61]                      // 000000006238: D3B14004 18007904
	v_pk_mul_f32 v[6:7], v[6:7], s[60:61]                      // 000000006240: D3B14006 18007906
	v_exp_f32_e32 v4, v4                                       // 000000006248: 7E084104
	v_exp_f32_e32 v5, v5                                       // 00000000624C: 7E0A4105
	v_exp_f32_e32 v6, v6                                       // 000000006250: 7E0C4106
	v_exp_f32_e32 v7, v7                                       // 000000006254: 7E0E4107
	v_add_f32_e64 v4, v4, 1.0                                  // 000000006258: D1010004 0001E504
	v_add_f32_e64 v5, v5, 1.0                                  // 000000006260: D1010005 0001E505
	v_add_f32_e64 v6, v6, 1.0                                  // 000000006268: D1010006 0001E506
	v_add_f32_e64 v7, v7, 1.0                                  // 000000006270: D1010007 0001E507
	v_rcp_f32_e32 v4, v4                                       // 000000006278: 7E084504
	v_rcp_f32_e32 v5, v5                                       // 00000000627C: 7E0A4505
	v_rcp_f32_e32 v6, v6                                       // 000000006280: 7E0C4506
	v_rcp_f32_e32 v7, v7                                       // 000000006284: 7E0E4507
	v_mul_f32_e32 v144, v144, v4                               // 000000006288: 0B200990
	v_mul_f32_e32 v145, v145, v5                               // 00000000628C: 0B220B91
	v_mul_f32_e32 v146, v146, v6                               // 000000006290: 0B240D92
	v_mul_f32_e32 v147, v147, v7                               // 000000006294: 0B260F93
	v_mul_f32_e32 v144, v144, v240                             // 000000006298: 0B21E190
	v_mul_f32_e32 v145, v145, v241                             // 00000000629C: 0B23E391
	v_mul_f32_e32 v146, v146, v242                             // 0000000062A0: 0B25E592
	v_mul_f32_e32 v147, v147, v243                             // 0000000062A4: 0B27E793
	v_pk_mul_f32 v[4:5], v[148:149], v[148:149]                // 0000000062A8: D3B14004 18032994
	v_pk_mul_f32 v[6:7], v[150:151], v[150:151]                // 0000000062B0: D3B14006 18032D96
	v_pk_fma_f32 v[4:5], v[4:5], s[78:79], v[8:9]              // 0000000062B8: D3B04004 1C209D04
	v_pk_fma_f32 v[6:7], v[6:7], s[78:79], v[8:9]              // 0000000062C0: D3B04006 1C209D06
	v_pk_mul_f32 v[4:5], v[4:5], v[148:149]                    // 0000000062C8: D3B14004 18032904
	v_pk_mul_f32 v[6:7], v[6:7], v[150:151]                    // 0000000062D0: D3B14006 18032D06
	v_pk_mul_f32 v[4:5], v[4:5], s[60:61]                      // 0000000062D8: D3B14004 18007904
	v_pk_mul_f32 v[6:7], v[6:7], s[60:61]                      // 0000000062E0: D3B14006 18007906
	v_exp_f32_e32 v4, v4                                       // 0000000062E8: 7E084104
	v_exp_f32_e32 v5, v5                                       // 0000000062EC: 7E0A4105
	v_exp_f32_e32 v6, v6                                       // 0000000062F0: 7E0C4106
	v_exp_f32_e32 v7, v7                                       // 0000000062F4: 7E0E4107
	v_add_f32_e64 v4, v4, 1.0                                  // 0000000062F8: D1010004 0001E504
	v_add_f32_e64 v5, v5, 1.0                                  // 000000006300: D1010005 0001E505
	v_add_f32_e64 v6, v6, 1.0                                  // 000000006308: D1010006 0001E506
	v_add_f32_e64 v7, v7, 1.0                                  // 000000006310: D1010007 0001E507
	v_rcp_f32_e32 v4, v4                                       // 000000006318: 7E084504
	v_rcp_f32_e32 v5, v5                                       // 00000000631C: 7E0A4505
	v_rcp_f32_e32 v6, v6                                       // 000000006320: 7E0C4506
	v_rcp_f32_e32 v7, v7                                       // 000000006324: 7E0E4507
	v_mul_f32_e32 v148, v148, v4                               // 000000006328: 0B280994
	v_mul_f32_e32 v149, v149, v5                               // 00000000632C: 0B2A0B95
	v_mul_f32_e32 v150, v150, v6                               // 000000006330: 0B2C0D96
	v_mul_f32_e32 v151, v151, v7                               // 000000006334: 0B2E0F97
	v_mul_f32_e32 v148, v148, v244                             // 000000006338: 0B29E994
	v_mul_f32_e32 v149, v149, v245                             // 00000000633C: 0B2BEB95
	v_mul_f32_e32 v150, v150, v246                             // 000000006340: 0B2DED96
	v_mul_f32_e32 v151, v151, v247                             // 000000006344: 0B2FEF97
	s_branch label_1153                                        // 000000006348: BF820300

000000000000634c <label_0E53>:
	v_mul_f32_e64 v4, -v56, s6                                 // 00000000634C: D1050004 20000D38
	v_mul_f32_e64 v5, -v57, s6                                 // 000000006354: D1050005 20000D39
	v_mul_f32_e64 v6, -v58, s6                                 // 00000000635C: D1050006 20000D3A
	v_mul_f32_e64 v7, -v59, s6                                 // 000000006364: D1050007 20000D3B
	v_exp_f32_e32 v4, v4                                       // 00000000636C: 7E084104
	v_exp_f32_e32 v5, v5                                       // 000000006370: 7E0A4105
	v_exp_f32_e32 v6, v6                                       // 000000006374: 7E0C4106
	v_exp_f32_e32 v7, v7                                       // 000000006378: 7E0E4107
	v_add_f32_e64 v4, v4, 1.0                                  // 00000000637C: D1010004 0001E504
	v_add_f32_e64 v5, v5, 1.0                                  // 000000006384: D1010005 0001E505
	v_add_f32_e64 v6, v6, 1.0                                  // 00000000638C: D1010006 0001E506
	v_add_f32_e64 v7, v7, 1.0                                  // 000000006394: D1010007 0001E507
	v_rcp_f32_e32 v4, v4                                       // 00000000639C: 7E084504
	v_rcp_f32_e32 v5, v5                                       // 0000000063A0: 7E0A4505
	v_rcp_f32_e32 v6, v6                                       // 0000000063A4: 7E0C4506
	v_rcp_f32_e32 v7, v7                                       // 0000000063A8: 7E0E4507
	v_mul_f32_e32 v56, v56, v4                                 // 0000000063AC: 0A700938
	v_mul_f32_e32 v57, v57, v5                                 // 0000000063B0: 0A720B39
	v_mul_f32_e32 v58, v58, v6                                 // 0000000063B4: 0A740D3A
	v_mul_f32_e32 v59, v59, v7                                 // 0000000063B8: 0A760F3B
	v_mul_f32_e32 v56, v56, v152                               // 0000000063BC: 0A713138
	v_mul_f32_e32 v57, v57, v153                               // 0000000063C0: 0A733339
	v_mul_f32_e32 v58, v58, v154                               // 0000000063C4: 0A75353A
	v_mul_f32_e32 v59, v59, v155                               // 0000000063C8: 0A77373B
	v_mul_f32_e64 v4, -v60, s6                                 // 0000000063CC: D1050004 20000D3C
	v_mul_f32_e64 v5, -v61, s6                                 // 0000000063D4: D1050005 20000D3D
	v_mul_f32_e64 v6, -v62, s6                                 // 0000000063DC: D1050006 20000D3E
	v_mul_f32_e64 v7, -v63, s6                                 // 0000000063E4: D1050007 20000D3F
	v_exp_f32_e32 v4, v4                                       // 0000000063EC: 7E084104
	v_exp_f32_e32 v5, v5                                       // 0000000063F0: 7E0A4105
	v_exp_f32_e32 v6, v6                                       // 0000000063F4: 7E0C4106
	v_exp_f32_e32 v7, v7                                       // 0000000063F8: 7E0E4107
	v_add_f32_e64 v4, v4, 1.0                                  // 0000000063FC: D1010004 0001E504
	v_add_f32_e64 v5, v5, 1.0                                  // 000000006404: D1010005 0001E505
	v_add_f32_e64 v6, v6, 1.0                                  // 00000000640C: D1010006 0001E506
	v_add_f32_e64 v7, v7, 1.0                                  // 000000006414: D1010007 0001E507
	v_rcp_f32_e32 v4, v4                                       // 00000000641C: 7E084504
	v_rcp_f32_e32 v5, v5                                       // 000000006420: 7E0A4505
	v_rcp_f32_e32 v6, v6                                       // 000000006424: 7E0C4506
	v_rcp_f32_e32 v7, v7                                       // 000000006428: 7E0E4507
	v_mul_f32_e32 v60, v60, v4                                 // 00000000642C: 0A78093C
	v_mul_f32_e32 v61, v61, v5                                 // 000000006430: 0A7A0B3D
	v_mul_f32_e32 v62, v62, v6                                 // 000000006434: 0A7C0D3E
	v_mul_f32_e32 v63, v63, v7                                 // 000000006438: 0A7E0F3F
	v_mul_f32_e32 v60, v60, v156                               // 00000000643C: 0A79393C
	v_mul_f32_e32 v61, v61, v157                               // 000000006440: 0A7B3B3D
	v_mul_f32_e32 v62, v62, v158                               // 000000006444: 0A7D3D3E
	v_mul_f32_e32 v63, v63, v159                               // 000000006448: 0A7F3F3F
	v_mul_f32_e64 v4, -v64, s6                                 // 00000000644C: D1050004 20000D40
	v_mul_f32_e64 v5, -v65, s6                                 // 000000006454: D1050005 20000D41
	v_mul_f32_e64 v6, -v66, s6                                 // 00000000645C: D1050006 20000D42
	v_mul_f32_e64 v7, -v67, s6                                 // 000000006464: D1050007 20000D43
	v_exp_f32_e32 v4, v4                                       // 00000000646C: 7E084104
	v_exp_f32_e32 v5, v5                                       // 000000006470: 7E0A4105
	v_exp_f32_e32 v6, v6                                       // 000000006474: 7E0C4106
	v_exp_f32_e32 v7, v7                                       // 000000006478: 7E0E4107
	v_add_f32_e64 v4, v4, 1.0                                  // 00000000647C: D1010004 0001E504
	v_add_f32_e64 v5, v5, 1.0                                  // 000000006484: D1010005 0001E505
	v_add_f32_e64 v6, v6, 1.0                                  // 00000000648C: D1010006 0001E506
	v_add_f32_e64 v7, v7, 1.0                                  // 000000006494: D1010007 0001E507
	v_rcp_f32_e32 v4, v4                                       // 00000000649C: 7E084504
	v_rcp_f32_e32 v5, v5                                       // 0000000064A0: 7E0A4505
	v_rcp_f32_e32 v6, v6                                       // 0000000064A4: 7E0C4506
	v_rcp_f32_e32 v7, v7                                       // 0000000064A8: 7E0E4507
	v_mul_f32_e32 v64, v64, v4                                 // 0000000064AC: 0A800940
	v_mul_f32_e32 v65, v65, v5                                 // 0000000064B0: 0A820B41
	v_mul_f32_e32 v66, v66, v6                                 // 0000000064B4: 0A840D42
	v_mul_f32_e32 v67, v67, v7                                 // 0000000064B8: 0A860F43
	v_mul_f32_e32 v64, v64, v160                               // 0000000064BC: 0A814140
	v_mul_f32_e32 v65, v65, v161                               // 0000000064C0: 0A834341
	v_mul_f32_e32 v66, v66, v162                               // 0000000064C4: 0A854542
	v_mul_f32_e32 v67, v67, v163                               // 0000000064C8: 0A874743
	v_mul_f32_e64 v4, -v68, s6                                 // 0000000064CC: D1050004 20000D44
	v_mul_f32_e64 v5, -v69, s6                                 // 0000000064D4: D1050005 20000D45
	v_mul_f32_e64 v6, -v70, s6                                 // 0000000064DC: D1050006 20000D46
	v_mul_f32_e64 v7, -v71, s6                                 // 0000000064E4: D1050007 20000D47
	v_exp_f32_e32 v4, v4                                       // 0000000064EC: 7E084104
	v_exp_f32_e32 v5, v5                                       // 0000000064F0: 7E0A4105
	v_exp_f32_e32 v6, v6                                       // 0000000064F4: 7E0C4106
	v_exp_f32_e32 v7, v7                                       // 0000000064F8: 7E0E4107
	v_add_f32_e64 v4, v4, 1.0                                  // 0000000064FC: D1010004 0001E504
	v_add_f32_e64 v5, v5, 1.0                                  // 000000006504: D1010005 0001E505
	v_add_f32_e64 v6, v6, 1.0                                  // 00000000650C: D1010006 0001E506
	v_add_f32_e64 v7, v7, 1.0                                  // 000000006514: D1010007 0001E507
	v_rcp_f32_e32 v4, v4                                       // 00000000651C: 7E084504
	v_rcp_f32_e32 v5, v5                                       // 000000006520: 7E0A4505
	v_rcp_f32_e32 v6, v6                                       // 000000006524: 7E0C4506
	v_rcp_f32_e32 v7, v7                                       // 000000006528: 7E0E4507
	v_mul_f32_e32 v68, v68, v4                                 // 00000000652C: 0A880944
	v_mul_f32_e32 v69, v69, v5                                 // 000000006530: 0A8A0B45
	v_mul_f32_e32 v70, v70, v6                                 // 000000006534: 0A8C0D46
	v_mul_f32_e32 v71, v71, v7                                 // 000000006538: 0A8E0F47
	v_mul_f32_e32 v68, v68, v164                               // 00000000653C: 0A894944
	v_mul_f32_e32 v69, v69, v165                               // 000000006540: 0A8B4B45
	v_mul_f32_e32 v70, v70, v166                               // 000000006544: 0A8D4D46
	v_mul_f32_e32 v71, v71, v167                               // 000000006548: 0A8F4F47
	v_mul_f32_e64 v4, -v72, s6                                 // 00000000654C: D1050004 20000D48
	v_mul_f32_e64 v5, -v73, s6                                 // 000000006554: D1050005 20000D49
	v_mul_f32_e64 v6, -v74, s6                                 // 00000000655C: D1050006 20000D4A
	v_mul_f32_e64 v7, -v75, s6                                 // 000000006564: D1050007 20000D4B
	v_exp_f32_e32 v4, v4                                       // 00000000656C: 7E084104
	v_exp_f32_e32 v5, v5                                       // 000000006570: 7E0A4105
	v_exp_f32_e32 v6, v6                                       // 000000006574: 7E0C4106
	v_exp_f32_e32 v7, v7                                       // 000000006578: 7E0E4107
	v_add_f32_e64 v4, v4, 1.0                                  // 00000000657C: D1010004 0001E504
	v_add_f32_e64 v5, v5, 1.0                                  // 000000006584: D1010005 0001E505
	v_add_f32_e64 v6, v6, 1.0                                  // 00000000658C: D1010006 0001E506
	v_add_f32_e64 v7, v7, 1.0                                  // 000000006594: D1010007 0001E507
	v_rcp_f32_e32 v4, v4                                       // 00000000659C: 7E084504
	v_rcp_f32_e32 v5, v5                                       // 0000000065A0: 7E0A4505
	v_rcp_f32_e32 v6, v6                                       // 0000000065A4: 7E0C4506
	v_rcp_f32_e32 v7, v7                                       // 0000000065A8: 7E0E4507
	v_mul_f32_e32 v72, v72, v4                                 // 0000000065AC: 0A900948
	v_mul_f32_e32 v73, v73, v5                                 // 0000000065B0: 0A920B49
	v_mul_f32_e32 v74, v74, v6                                 // 0000000065B4: 0A940D4A
	v_mul_f32_e32 v75, v75, v7                                 // 0000000065B8: 0A960F4B
	v_mul_f32_e32 v72, v72, v168                               // 0000000065BC: 0A915148
	v_mul_f32_e32 v73, v73, v169                               // 0000000065C0: 0A935349
	v_mul_f32_e32 v74, v74, v170                               // 0000000065C4: 0A95554A
	v_mul_f32_e32 v75, v75, v171                               // 0000000065C8: 0A97574B
	v_mul_f32_e64 v4, -v76, s6                                 // 0000000065CC: D1050004 20000D4C
	v_mul_f32_e64 v5, -v77, s6                                 // 0000000065D4: D1050005 20000D4D
	v_mul_f32_e64 v6, -v78, s6                                 // 0000000065DC: D1050006 20000D4E
	v_mul_f32_e64 v7, -v79, s6                                 // 0000000065E4: D1050007 20000D4F
	v_exp_f32_e32 v4, v4                                       // 0000000065EC: 7E084104
	v_exp_f32_e32 v5, v5                                       // 0000000065F0: 7E0A4105
	v_exp_f32_e32 v6, v6                                       // 0000000065F4: 7E0C4106
	v_exp_f32_e32 v7, v7                                       // 0000000065F8: 7E0E4107
	v_add_f32_e64 v4, v4, 1.0                                  // 0000000065FC: D1010004 0001E504
	v_add_f32_e64 v5, v5, 1.0                                  // 000000006604: D1010005 0001E505
	v_add_f32_e64 v6, v6, 1.0                                  // 00000000660C: D1010006 0001E506
	v_add_f32_e64 v7, v7, 1.0                                  // 000000006614: D1010007 0001E507
	v_rcp_f32_e32 v4, v4                                       // 00000000661C: 7E084504
	v_rcp_f32_e32 v5, v5                                       // 000000006620: 7E0A4505
	v_rcp_f32_e32 v6, v6                                       // 000000006624: 7E0C4506
	v_rcp_f32_e32 v7, v7                                       // 000000006628: 7E0E4507
	v_mul_f32_e32 v76, v76, v4                                 // 00000000662C: 0A98094C
	v_mul_f32_e32 v77, v77, v5                                 // 000000006630: 0A9A0B4D
	v_mul_f32_e32 v78, v78, v6                                 // 000000006634: 0A9C0D4E
	v_mul_f32_e32 v79, v79, v7                                 // 000000006638: 0A9E0F4F
	v_mul_f32_e32 v76, v76, v172                               // 00000000663C: 0A99594C
	v_mul_f32_e32 v77, v77, v173                               // 000000006640: 0A9B5B4D
	v_mul_f32_e32 v78, v78, v174                               // 000000006644: 0A9D5D4E
	v_mul_f32_e32 v79, v79, v175                               // 000000006648: 0A9F5F4F
	v_mul_f32_e64 v4, -v80, s6                                 // 00000000664C: D1050004 20000D50
	v_mul_f32_e64 v5, -v81, s6                                 // 000000006654: D1050005 20000D51
	v_mul_f32_e64 v6, -v82, s6                                 // 00000000665C: D1050006 20000D52
	v_mul_f32_e64 v7, -v83, s6                                 // 000000006664: D1050007 20000D53
	v_exp_f32_e32 v4, v4                                       // 00000000666C: 7E084104
	v_exp_f32_e32 v5, v5                                       // 000000006670: 7E0A4105
	v_exp_f32_e32 v6, v6                                       // 000000006674: 7E0C4106
	v_exp_f32_e32 v7, v7                                       // 000000006678: 7E0E4107
	v_add_f32_e64 v4, v4, 1.0                                  // 00000000667C: D1010004 0001E504
	v_add_f32_e64 v5, v5, 1.0                                  // 000000006684: D1010005 0001E505
	v_add_f32_e64 v6, v6, 1.0                                  // 00000000668C: D1010006 0001E506
	v_add_f32_e64 v7, v7, 1.0                                  // 000000006694: D1010007 0001E507
	v_rcp_f32_e32 v4, v4                                       // 00000000669C: 7E084504
	v_rcp_f32_e32 v5, v5                                       // 0000000066A0: 7E0A4505
	v_rcp_f32_e32 v6, v6                                       // 0000000066A4: 7E0C4506
	v_rcp_f32_e32 v7, v7                                       // 0000000066A8: 7E0E4507
	v_mul_f32_e32 v80, v80, v4                                 // 0000000066AC: 0AA00950
	v_mul_f32_e32 v81, v81, v5                                 // 0000000066B0: 0AA20B51
	v_mul_f32_e32 v82, v82, v6                                 // 0000000066B4: 0AA40D52
	v_mul_f32_e32 v83, v83, v7                                 // 0000000066B8: 0AA60F53
	v_mul_f32_e32 v80, v80, v176                               // 0000000066BC: 0AA16150
	v_mul_f32_e32 v81, v81, v177                               // 0000000066C0: 0AA36351
	v_mul_f32_e32 v82, v82, v178                               // 0000000066C4: 0AA56552
	v_mul_f32_e32 v83, v83, v179                               // 0000000066C8: 0AA76753
	v_mul_f32_e64 v4, -v84, s6                                 // 0000000066CC: D1050004 20000D54
	v_mul_f32_e64 v5, -v85, s6                                 // 0000000066D4: D1050005 20000D55
	v_mul_f32_e64 v6, -v86, s6                                 // 0000000066DC: D1050006 20000D56
	v_mul_f32_e64 v7, -v87, s6                                 // 0000000066E4: D1050007 20000D57
	v_exp_f32_e32 v4, v4                                       // 0000000066EC: 7E084104
	v_exp_f32_e32 v5, v5                                       // 0000000066F0: 7E0A4105
	v_exp_f32_e32 v6, v6                                       // 0000000066F4: 7E0C4106
	v_exp_f32_e32 v7, v7                                       // 0000000066F8: 7E0E4107
	v_add_f32_e64 v4, v4, 1.0                                  // 0000000066FC: D1010004 0001E504
	v_add_f32_e64 v5, v5, 1.0                                  // 000000006704: D1010005 0001E505
	v_add_f32_e64 v6, v6, 1.0                                  // 00000000670C: D1010006 0001E506
	v_add_f32_e64 v7, v7, 1.0                                  // 000000006714: D1010007 0001E507
	v_rcp_f32_e32 v4, v4                                       // 00000000671C: 7E084504
	v_rcp_f32_e32 v5, v5                                       // 000000006720: 7E0A4505
	v_rcp_f32_e32 v6, v6                                       // 000000006724: 7E0C4506
	v_rcp_f32_e32 v7, v7                                       // 000000006728: 7E0E4507
	v_mul_f32_e32 v84, v84, v4                                 // 00000000672C: 0AA80954
	v_mul_f32_e32 v85, v85, v5                                 // 000000006730: 0AAA0B55
	v_mul_f32_e32 v86, v86, v6                                 // 000000006734: 0AAC0D56
	v_mul_f32_e32 v87, v87, v7                                 // 000000006738: 0AAE0F57
	v_mul_f32_e32 v84, v84, v180                               // 00000000673C: 0AA96954
	v_mul_f32_e32 v85, v85, v181                               // 000000006740: 0AAB6B55
	v_mul_f32_e32 v86, v86, v182                               // 000000006744: 0AAD6D56
	v_mul_f32_e32 v87, v87, v183                               // 000000006748: 0AAF6F57
	v_mul_f32_e64 v4, -v88, s6                                 // 00000000674C: D1050004 20000D58
	v_mul_f32_e64 v5, -v89, s6                                 // 000000006754: D1050005 20000D59
	v_mul_f32_e64 v6, -v90, s6                                 // 00000000675C: D1050006 20000D5A
	v_mul_f32_e64 v7, -v91, s6                                 // 000000006764: D1050007 20000D5B
	v_exp_f32_e32 v4, v4                                       // 00000000676C: 7E084104
	v_exp_f32_e32 v5, v5                                       // 000000006770: 7E0A4105
	v_exp_f32_e32 v6, v6                                       // 000000006774: 7E0C4106
	v_exp_f32_e32 v7, v7                                       // 000000006778: 7E0E4107
	v_add_f32_e64 v4, v4, 1.0                                  // 00000000677C: D1010004 0001E504
	v_add_f32_e64 v5, v5, 1.0                                  // 000000006784: D1010005 0001E505
	v_add_f32_e64 v6, v6, 1.0                                  // 00000000678C: D1010006 0001E506
	v_add_f32_e64 v7, v7, 1.0                                  // 000000006794: D1010007 0001E507
	v_rcp_f32_e32 v4, v4                                       // 00000000679C: 7E084504
	v_rcp_f32_e32 v5, v5                                       // 0000000067A0: 7E0A4505
	v_rcp_f32_e32 v6, v6                                       // 0000000067A4: 7E0C4506
	v_rcp_f32_e32 v7, v7                                       // 0000000067A8: 7E0E4507
	v_mul_f32_e32 v88, v88, v4                                 // 0000000067AC: 0AB00958
	v_mul_f32_e32 v89, v89, v5                                 // 0000000067B0: 0AB20B59
	v_mul_f32_e32 v90, v90, v6                                 // 0000000067B4: 0AB40D5A
	v_mul_f32_e32 v91, v91, v7                                 // 0000000067B8: 0AB60F5B
	v_mul_f32_e32 v88, v88, v184                               // 0000000067BC: 0AB17158
	v_mul_f32_e32 v89, v89, v185                               // 0000000067C0: 0AB37359
	v_mul_f32_e32 v90, v90, v186                               // 0000000067C4: 0AB5755A
	v_mul_f32_e32 v91, v91, v187                               // 0000000067C8: 0AB7775B
	v_mul_f32_e64 v4, -v92, s6                                 // 0000000067CC: D1050004 20000D5C
	v_mul_f32_e64 v5, -v93, s6                                 // 0000000067D4: D1050005 20000D5D
	v_mul_f32_e64 v6, -v94, s6                                 // 0000000067DC: D1050006 20000D5E
	v_mul_f32_e64 v7, -v95, s6                                 // 0000000067E4: D1050007 20000D5F
	v_exp_f32_e32 v4, v4                                       // 0000000067EC: 7E084104
	v_exp_f32_e32 v5, v5                                       // 0000000067F0: 7E0A4105
	v_exp_f32_e32 v6, v6                                       // 0000000067F4: 7E0C4106
	v_exp_f32_e32 v7, v7                                       // 0000000067F8: 7E0E4107
	v_add_f32_e64 v4, v4, 1.0                                  // 0000000067FC: D1010004 0001E504
	v_add_f32_e64 v5, v5, 1.0                                  // 000000006804: D1010005 0001E505
	v_add_f32_e64 v6, v6, 1.0                                  // 00000000680C: D1010006 0001E506
	v_add_f32_e64 v7, v7, 1.0                                  // 000000006814: D1010007 0001E507
	v_rcp_f32_e32 v4, v4                                       // 00000000681C: 7E084504
	v_rcp_f32_e32 v5, v5                                       // 000000006820: 7E0A4505
	v_rcp_f32_e32 v6, v6                                       // 000000006824: 7E0C4506
	v_rcp_f32_e32 v7, v7                                       // 000000006828: 7E0E4507
	v_mul_f32_e32 v92, v92, v4                                 // 00000000682C: 0AB8095C
	v_mul_f32_e32 v93, v93, v5                                 // 000000006830: 0ABA0B5D
	v_mul_f32_e32 v94, v94, v6                                 // 000000006834: 0ABC0D5E
	v_mul_f32_e32 v95, v95, v7                                 // 000000006838: 0ABE0F5F
	v_mul_f32_e32 v92, v92, v188                               // 00000000683C: 0AB9795C
	v_mul_f32_e32 v93, v93, v189                               // 000000006840: 0ABB7B5D
	v_mul_f32_e32 v94, v94, v190                               // 000000006844: 0ABD7D5E
	v_mul_f32_e32 v95, v95, v191                               // 000000006848: 0ABF7F5F
	v_mul_f32_e64 v4, -v96, s6                                 // 00000000684C: D1050004 20000D60
	v_mul_f32_e64 v5, -v97, s6                                 // 000000006854: D1050005 20000D61
	v_mul_f32_e64 v6, -v98, s6                                 // 00000000685C: D1050006 20000D62
	v_mul_f32_e64 v7, -v99, s6                                 // 000000006864: D1050007 20000D63
	v_exp_f32_e32 v4, v4                                       // 00000000686C: 7E084104
	v_exp_f32_e32 v5, v5                                       // 000000006870: 7E0A4105
	v_exp_f32_e32 v6, v6                                       // 000000006874: 7E0C4106
	v_exp_f32_e32 v7, v7                                       // 000000006878: 7E0E4107
	v_add_f32_e64 v4, v4, 1.0                                  // 00000000687C: D1010004 0001E504
	v_add_f32_e64 v5, v5, 1.0                                  // 000000006884: D1010005 0001E505
	v_add_f32_e64 v6, v6, 1.0                                  // 00000000688C: D1010006 0001E506
	v_add_f32_e64 v7, v7, 1.0                                  // 000000006894: D1010007 0001E507
	v_rcp_f32_e32 v4, v4                                       // 00000000689C: 7E084504
	v_rcp_f32_e32 v5, v5                                       // 0000000068A0: 7E0A4505
	v_rcp_f32_e32 v6, v6                                       // 0000000068A4: 7E0C4506
	v_rcp_f32_e32 v7, v7                                       // 0000000068A8: 7E0E4507
	v_mul_f32_e32 v96, v96, v4                                 // 0000000068AC: 0AC00960
	v_mul_f32_e32 v97, v97, v5                                 // 0000000068B0: 0AC20B61
	v_mul_f32_e32 v98, v98, v6                                 // 0000000068B4: 0AC40D62
	v_mul_f32_e32 v99, v99, v7                                 // 0000000068B8: 0AC60F63
	v_mul_f32_e32 v96, v96, v192                               // 0000000068BC: 0AC18160
	v_mul_f32_e32 v97, v97, v193                               // 0000000068C0: 0AC38361
	v_mul_f32_e32 v98, v98, v194                               // 0000000068C4: 0AC58562
	v_mul_f32_e32 v99, v99, v195                               // 0000000068C8: 0AC78763
	v_mul_f32_e64 v4, -v100, s6                                // 0000000068CC: D1050004 20000D64
	v_mul_f32_e64 v5, -v101, s6                                // 0000000068D4: D1050005 20000D65
	v_mul_f32_e64 v6, -v102, s6                                // 0000000068DC: D1050006 20000D66
	v_mul_f32_e64 v7, -v103, s6                                // 0000000068E4: D1050007 20000D67
	v_exp_f32_e32 v4, v4                                       // 0000000068EC: 7E084104
	v_exp_f32_e32 v5, v5                                       // 0000000068F0: 7E0A4105
	v_exp_f32_e32 v6, v6                                       // 0000000068F4: 7E0C4106
	v_exp_f32_e32 v7, v7                                       // 0000000068F8: 7E0E4107
	v_add_f32_e64 v4, v4, 1.0                                  // 0000000068FC: D1010004 0001E504
	v_add_f32_e64 v5, v5, 1.0                                  // 000000006904: D1010005 0001E505
	v_add_f32_e64 v6, v6, 1.0                                  // 00000000690C: D1010006 0001E506
	v_add_f32_e64 v7, v7, 1.0                                  // 000000006914: D1010007 0001E507
	v_rcp_f32_e32 v4, v4                                       // 00000000691C: 7E084504
	v_rcp_f32_e32 v5, v5                                       // 000000006920: 7E0A4505
	v_rcp_f32_e32 v6, v6                                       // 000000006924: 7E0C4506
	v_rcp_f32_e32 v7, v7                                       // 000000006928: 7E0E4507
	v_mul_f32_e32 v100, v100, v4                               // 00000000692C: 0AC80964
	v_mul_f32_e32 v101, v101, v5                               // 000000006930: 0ACA0B65
	v_mul_f32_e32 v102, v102, v6                               // 000000006934: 0ACC0D66
	v_mul_f32_e32 v103, v103, v7                               // 000000006938: 0ACE0F67
	v_mul_f32_e32 v100, v100, v196                             // 00000000693C: 0AC98964
	v_mul_f32_e32 v101, v101, v197                             // 000000006940: 0ACB8B65
	v_mul_f32_e32 v102, v102, v198                             // 000000006944: 0ACD8D66
	v_mul_f32_e32 v103, v103, v199                             // 000000006948: 0ACF8F67
	v_mul_f32_e64 v4, -v104, s6                                // 00000000694C: D1050004 20000D68
	v_mul_f32_e64 v5, -v105, s6                                // 000000006954: D1050005 20000D69
	v_mul_f32_e64 v6, -v106, s6                                // 00000000695C: D1050006 20000D6A
	v_mul_f32_e64 v7, -v107, s6                                // 000000006964: D1050007 20000D6B
	v_exp_f32_e32 v4, v4                                       // 00000000696C: 7E084104
	v_exp_f32_e32 v5, v5                                       // 000000006970: 7E0A4105
	v_exp_f32_e32 v6, v6                                       // 000000006974: 7E0C4106
	v_exp_f32_e32 v7, v7                                       // 000000006978: 7E0E4107
	v_add_f32_e64 v4, v4, 1.0                                  // 00000000697C: D1010004 0001E504
	v_add_f32_e64 v5, v5, 1.0                                  // 000000006984: D1010005 0001E505
	v_add_f32_e64 v6, v6, 1.0                                  // 00000000698C: D1010006 0001E506
	v_add_f32_e64 v7, v7, 1.0                                  // 000000006994: D1010007 0001E507
	v_rcp_f32_e32 v4, v4                                       // 00000000699C: 7E084504
	v_rcp_f32_e32 v5, v5                                       // 0000000069A0: 7E0A4505
	v_rcp_f32_e32 v6, v6                                       // 0000000069A4: 7E0C4506
	v_rcp_f32_e32 v7, v7                                       // 0000000069A8: 7E0E4507
	v_mul_f32_e32 v104, v104, v4                               // 0000000069AC: 0AD00968
	v_mul_f32_e32 v105, v105, v5                               // 0000000069B0: 0AD20B69
	v_mul_f32_e32 v106, v106, v6                               // 0000000069B4: 0AD40D6A
	v_mul_f32_e32 v107, v107, v7                               // 0000000069B8: 0AD60F6B
	v_mul_f32_e32 v104, v104, v200                             // 0000000069BC: 0AD19168
	v_mul_f32_e32 v105, v105, v201                             // 0000000069C0: 0AD39369
	v_mul_f32_e32 v106, v106, v202                             // 0000000069C4: 0AD5956A
	v_mul_f32_e32 v107, v107, v203                             // 0000000069C8: 0AD7976B
	v_mul_f32_e64 v4, -v108, s6                                // 0000000069CC: D1050004 20000D6C
	v_mul_f32_e64 v5, -v109, s6                                // 0000000069D4: D1050005 20000D6D
	v_mul_f32_e64 v6, -v110, s6                                // 0000000069DC: D1050006 20000D6E
	v_mul_f32_e64 v7, -v111, s6                                // 0000000069E4: D1050007 20000D6F
	v_exp_f32_e32 v4, v4                                       // 0000000069EC: 7E084104
	v_exp_f32_e32 v5, v5                                       // 0000000069F0: 7E0A4105
	v_exp_f32_e32 v6, v6                                       // 0000000069F4: 7E0C4106
	v_exp_f32_e32 v7, v7                                       // 0000000069F8: 7E0E4107
	v_add_f32_e64 v4, v4, 1.0                                  // 0000000069FC: D1010004 0001E504
	v_add_f32_e64 v5, v5, 1.0                                  // 000000006A04: D1010005 0001E505
	v_add_f32_e64 v6, v6, 1.0                                  // 000000006A0C: D1010006 0001E506
	v_add_f32_e64 v7, v7, 1.0                                  // 000000006A14: D1010007 0001E507
	v_rcp_f32_e32 v4, v4                                       // 000000006A1C: 7E084504
	v_rcp_f32_e32 v5, v5                                       // 000000006A20: 7E0A4505
	v_rcp_f32_e32 v6, v6                                       // 000000006A24: 7E0C4506
	v_rcp_f32_e32 v7, v7                                       // 000000006A28: 7E0E4507
	v_mul_f32_e32 v108, v108, v4                               // 000000006A2C: 0AD8096C
	v_mul_f32_e32 v109, v109, v5                               // 000000006A30: 0ADA0B6D
	v_mul_f32_e32 v110, v110, v6                               // 000000006A34: 0ADC0D6E
	v_mul_f32_e32 v111, v111, v7                               // 000000006A38: 0ADE0F6F
	v_mul_f32_e32 v108, v108, v204                             // 000000006A3C: 0AD9996C
	v_mul_f32_e32 v109, v109, v205                             // 000000006A40: 0ADB9B6D
	v_mul_f32_e32 v110, v110, v206                             // 000000006A44: 0ADD9D6E
	v_mul_f32_e32 v111, v111, v207                             // 000000006A48: 0ADF9F6F
	v_mul_f32_e64 v4, -v112, s6                                // 000000006A4C: D1050004 20000D70
	v_mul_f32_e64 v5, -v113, s6                                // 000000006A54: D1050005 20000D71
	v_mul_f32_e64 v6, -v114, s6                                // 000000006A5C: D1050006 20000D72
	v_mul_f32_e64 v7, -v115, s6                                // 000000006A64: D1050007 20000D73
	v_exp_f32_e32 v4, v4                                       // 000000006A6C: 7E084104
	v_exp_f32_e32 v5, v5                                       // 000000006A70: 7E0A4105
	v_exp_f32_e32 v6, v6                                       // 000000006A74: 7E0C4106
	v_exp_f32_e32 v7, v7                                       // 000000006A78: 7E0E4107
	v_add_f32_e64 v4, v4, 1.0                                  // 000000006A7C: D1010004 0001E504
	v_add_f32_e64 v5, v5, 1.0                                  // 000000006A84: D1010005 0001E505
	v_add_f32_e64 v6, v6, 1.0                                  // 000000006A8C: D1010006 0001E506
	v_add_f32_e64 v7, v7, 1.0                                  // 000000006A94: D1010007 0001E507
	v_rcp_f32_e32 v4, v4                                       // 000000006A9C: 7E084504
	v_rcp_f32_e32 v5, v5                                       // 000000006AA0: 7E0A4505
	v_rcp_f32_e32 v6, v6                                       // 000000006AA4: 7E0C4506
	v_rcp_f32_e32 v7, v7                                       // 000000006AA8: 7E0E4507
	v_mul_f32_e32 v112, v112, v4                               // 000000006AAC: 0AE00970
	v_mul_f32_e32 v113, v113, v5                               // 000000006AB0: 0AE20B71
	v_mul_f32_e32 v114, v114, v6                               // 000000006AB4: 0AE40D72
	v_mul_f32_e32 v115, v115, v7                               // 000000006AB8: 0AE60F73
	v_mul_f32_e32 v112, v112, v208                             // 000000006ABC: 0AE1A170
	v_mul_f32_e32 v113, v113, v209                             // 000000006AC0: 0AE3A371
	v_mul_f32_e32 v114, v114, v210                             // 000000006AC4: 0AE5A572
	v_mul_f32_e32 v115, v115, v211                             // 000000006AC8: 0AE7A773
	v_mul_f32_e64 v4, -v116, s6                                // 000000006ACC: D1050004 20000D74
	v_mul_f32_e64 v5, -v117, s6                                // 000000006AD4: D1050005 20000D75
	v_mul_f32_e64 v6, -v118, s6                                // 000000006ADC: D1050006 20000D76
	v_mul_f32_e64 v7, -v119, s6                                // 000000006AE4: D1050007 20000D77
	v_exp_f32_e32 v4, v4                                       // 000000006AEC: 7E084104
	v_exp_f32_e32 v5, v5                                       // 000000006AF0: 7E0A4105
	v_exp_f32_e32 v6, v6                                       // 000000006AF4: 7E0C4106
	v_exp_f32_e32 v7, v7                                       // 000000006AF8: 7E0E4107
	v_add_f32_e64 v4, v4, 1.0                                  // 000000006AFC: D1010004 0001E504
	v_add_f32_e64 v5, v5, 1.0                                  // 000000006B04: D1010005 0001E505
	v_add_f32_e64 v6, v6, 1.0                                  // 000000006B0C: D1010006 0001E506
	v_add_f32_e64 v7, v7, 1.0                                  // 000000006B14: D1010007 0001E507
	v_rcp_f32_e32 v4, v4                                       // 000000006B1C: 7E084504
	v_rcp_f32_e32 v5, v5                                       // 000000006B20: 7E0A4505
	v_rcp_f32_e32 v6, v6                                       // 000000006B24: 7E0C4506
	v_rcp_f32_e32 v7, v7                                       // 000000006B28: 7E0E4507
	v_mul_f32_e32 v116, v116, v4                               // 000000006B2C: 0AE80974
	v_mul_f32_e32 v117, v117, v5                               // 000000006B30: 0AEA0B75
	v_mul_f32_e32 v118, v118, v6                               // 000000006B34: 0AEC0D76
	v_mul_f32_e32 v119, v119, v7                               // 000000006B38: 0AEE0F77
	v_mul_f32_e32 v116, v116, v212                             // 000000006B3C: 0AE9A974
	v_mul_f32_e32 v117, v117, v213                             // 000000006B40: 0AEBAB75
	v_mul_f32_e32 v118, v118, v214                             // 000000006B44: 0AEDAD76
	v_mul_f32_e32 v119, v119, v215                             // 000000006B48: 0AEFAF77
	v_mul_f32_e64 v4, -v120, s6                                // 000000006B4C: D1050004 20000D78
	v_mul_f32_e64 v5, -v121, s6                                // 000000006B54: D1050005 20000D79
	v_mul_f32_e64 v6, -v122, s6                                // 000000006B5C: D1050006 20000D7A
	v_mul_f32_e64 v7, -v123, s6                                // 000000006B64: D1050007 20000D7B
	v_exp_f32_e32 v4, v4                                       // 000000006B6C: 7E084104
	v_exp_f32_e32 v5, v5                                       // 000000006B70: 7E0A4105
	v_exp_f32_e32 v6, v6                                       // 000000006B74: 7E0C4106
	v_exp_f32_e32 v7, v7                                       // 000000006B78: 7E0E4107
	v_add_f32_e64 v4, v4, 1.0                                  // 000000006B7C: D1010004 0001E504
	v_add_f32_e64 v5, v5, 1.0                                  // 000000006B84: D1010005 0001E505
	v_add_f32_e64 v6, v6, 1.0                                  // 000000006B8C: D1010006 0001E506
	v_add_f32_e64 v7, v7, 1.0                                  // 000000006B94: D1010007 0001E507
	v_rcp_f32_e32 v4, v4                                       // 000000006B9C: 7E084504
	v_rcp_f32_e32 v5, v5                                       // 000000006BA0: 7E0A4505
	v_rcp_f32_e32 v6, v6                                       // 000000006BA4: 7E0C4506
	v_rcp_f32_e32 v7, v7                                       // 000000006BA8: 7E0E4507
	v_mul_f32_e32 v120, v120, v4                               // 000000006BAC: 0AF00978
	v_mul_f32_e32 v121, v121, v5                               // 000000006BB0: 0AF20B79
	v_mul_f32_e32 v122, v122, v6                               // 000000006BB4: 0AF40D7A
	v_mul_f32_e32 v123, v123, v7                               // 000000006BB8: 0AF60F7B
	v_mul_f32_e32 v120, v120, v216                             // 000000006BBC: 0AF1B178
	v_mul_f32_e32 v121, v121, v217                             // 000000006BC0: 0AF3B379
	v_mul_f32_e32 v122, v122, v218                             // 000000006BC4: 0AF5B57A
	v_mul_f32_e32 v123, v123, v219                             // 000000006BC8: 0AF7B77B
	v_mul_f32_e64 v4, -v124, s6                                // 000000006BCC: D1050004 20000D7C
	v_mul_f32_e64 v5, -v125, s6                                // 000000006BD4: D1050005 20000D7D
	v_mul_f32_e64 v6, -v126, s6                                // 000000006BDC: D1050006 20000D7E
	v_mul_f32_e64 v7, -v127, s6                                // 000000006BE4: D1050007 20000D7F
	v_exp_f32_e32 v4, v4                                       // 000000006BEC: 7E084104
	v_exp_f32_e32 v5, v5                                       // 000000006BF0: 7E0A4105
	v_exp_f32_e32 v6, v6                                       // 000000006BF4: 7E0C4106
	v_exp_f32_e32 v7, v7                                       // 000000006BF8: 7E0E4107
	v_add_f32_e64 v4, v4, 1.0                                  // 000000006BFC: D1010004 0001E504
	v_add_f32_e64 v5, v5, 1.0                                  // 000000006C04: D1010005 0001E505
	v_add_f32_e64 v6, v6, 1.0                                  // 000000006C0C: D1010006 0001E506
	v_add_f32_e64 v7, v7, 1.0                                  // 000000006C14: D1010007 0001E507
	v_rcp_f32_e32 v4, v4                                       // 000000006C1C: 7E084504
	v_rcp_f32_e32 v5, v5                                       // 000000006C20: 7E0A4505
	v_rcp_f32_e32 v6, v6                                       // 000000006C24: 7E0C4506
	v_rcp_f32_e32 v7, v7                                       // 000000006C28: 7E0E4507
	v_mul_f32_e32 v124, v124, v4                               // 000000006C2C: 0AF8097C
	v_mul_f32_e32 v125, v125, v5                               // 000000006C30: 0AFA0B7D
	v_mul_f32_e32 v126, v126, v6                               // 000000006C34: 0AFC0D7E
	v_mul_f32_e32 v127, v127, v7                               // 000000006C38: 0AFE0F7F
	v_mul_f32_e32 v124, v124, v220                             // 000000006C3C: 0AF9B97C
	v_mul_f32_e32 v125, v125, v221                             // 000000006C40: 0AFBBB7D
	v_mul_f32_e32 v126, v126, v222                             // 000000006C44: 0AFDBD7E
	v_mul_f32_e32 v127, v127, v223                             // 000000006C48: 0AFFBF7F
	v_mul_f32_e64 v4, -v128, s6                                // 000000006C4C: D1050004 20000D80
	v_mul_f32_e64 v5, -v129, s6                                // 000000006C54: D1050005 20000D81
	v_mul_f32_e64 v6, -v130, s6                                // 000000006C5C: D1050006 20000D82
	v_mul_f32_e64 v7, -v131, s6                                // 000000006C64: D1050007 20000D83
	v_exp_f32_e32 v4, v4                                       // 000000006C6C: 7E084104
	v_exp_f32_e32 v5, v5                                       // 000000006C70: 7E0A4105
	v_exp_f32_e32 v6, v6                                       // 000000006C74: 7E0C4106
	v_exp_f32_e32 v7, v7                                       // 000000006C78: 7E0E4107
	v_add_f32_e64 v4, v4, 1.0                                  // 000000006C7C: D1010004 0001E504
	v_add_f32_e64 v5, v5, 1.0                                  // 000000006C84: D1010005 0001E505
	v_add_f32_e64 v6, v6, 1.0                                  // 000000006C8C: D1010006 0001E506
	v_add_f32_e64 v7, v7, 1.0                                  // 000000006C94: D1010007 0001E507
	v_rcp_f32_e32 v4, v4                                       // 000000006C9C: 7E084504
	v_rcp_f32_e32 v5, v5                                       // 000000006CA0: 7E0A4505
	v_rcp_f32_e32 v6, v6                                       // 000000006CA4: 7E0C4506
	v_rcp_f32_e32 v7, v7                                       // 000000006CA8: 7E0E4507
	v_mul_f32_e32 v128, v128, v4                               // 000000006CAC: 0B000980
	v_mul_f32_e32 v129, v129, v5                               // 000000006CB0: 0B020B81
	v_mul_f32_e32 v130, v130, v6                               // 000000006CB4: 0B040D82
	v_mul_f32_e32 v131, v131, v7                               // 000000006CB8: 0B060F83
	v_mul_f32_e32 v128, v128, v224                             // 000000006CBC: 0B01C180
	v_mul_f32_e32 v129, v129, v225                             // 000000006CC0: 0B03C381
	v_mul_f32_e32 v130, v130, v226                             // 000000006CC4: 0B05C582
	v_mul_f32_e32 v131, v131, v227                             // 000000006CC8: 0B07C783
	v_mul_f32_e64 v4, -v132, s6                                // 000000006CCC: D1050004 20000D84
	v_mul_f32_e64 v5, -v133, s6                                // 000000006CD4: D1050005 20000D85
	v_mul_f32_e64 v6, -v134, s6                                // 000000006CDC: D1050006 20000D86
	v_mul_f32_e64 v7, -v135, s6                                // 000000006CE4: D1050007 20000D87
	v_exp_f32_e32 v4, v4                                       // 000000006CEC: 7E084104
	v_exp_f32_e32 v5, v5                                       // 000000006CF0: 7E0A4105
	v_exp_f32_e32 v6, v6                                       // 000000006CF4: 7E0C4106
	v_exp_f32_e32 v7, v7                                       // 000000006CF8: 7E0E4107
	v_add_f32_e64 v4, v4, 1.0                                  // 000000006CFC: D1010004 0001E504
	v_add_f32_e64 v5, v5, 1.0                                  // 000000006D04: D1010005 0001E505
	v_add_f32_e64 v6, v6, 1.0                                  // 000000006D0C: D1010006 0001E506
	v_add_f32_e64 v7, v7, 1.0                                  // 000000006D14: D1010007 0001E507
	v_rcp_f32_e32 v4, v4                                       // 000000006D1C: 7E084504
	v_rcp_f32_e32 v5, v5                                       // 000000006D20: 7E0A4505
	v_rcp_f32_e32 v6, v6                                       // 000000006D24: 7E0C4506
	v_rcp_f32_e32 v7, v7                                       // 000000006D28: 7E0E4507
	v_mul_f32_e32 v132, v132, v4                               // 000000006D2C: 0B080984
	v_mul_f32_e32 v133, v133, v5                               // 000000006D30: 0B0A0B85
	v_mul_f32_e32 v134, v134, v6                               // 000000006D34: 0B0C0D86
	v_mul_f32_e32 v135, v135, v7                               // 000000006D38: 0B0E0F87
	v_mul_f32_e32 v132, v132, v228                             // 000000006D3C: 0B09C984
	v_mul_f32_e32 v133, v133, v229                             // 000000006D40: 0B0BCB85
	v_mul_f32_e32 v134, v134, v230                             // 000000006D44: 0B0DCD86
	v_mul_f32_e32 v135, v135, v231                             // 000000006D48: 0B0FCF87
	v_mul_f32_e64 v4, -v136, s6                                // 000000006D4C: D1050004 20000D88
	v_mul_f32_e64 v5, -v137, s6                                // 000000006D54: D1050005 20000D89
	v_mul_f32_e64 v6, -v138, s6                                // 000000006D5C: D1050006 20000D8A
	v_mul_f32_e64 v7, -v139, s6                                // 000000006D64: D1050007 20000D8B
	v_exp_f32_e32 v4, v4                                       // 000000006D6C: 7E084104
	v_exp_f32_e32 v5, v5                                       // 000000006D70: 7E0A4105
	v_exp_f32_e32 v6, v6                                       // 000000006D74: 7E0C4106
	v_exp_f32_e32 v7, v7                                       // 000000006D78: 7E0E4107
	v_add_f32_e64 v4, v4, 1.0                                  // 000000006D7C: D1010004 0001E504
	v_add_f32_e64 v5, v5, 1.0                                  // 000000006D84: D1010005 0001E505
	v_add_f32_e64 v6, v6, 1.0                                  // 000000006D8C: D1010006 0001E506
	v_add_f32_e64 v7, v7, 1.0                                  // 000000006D94: D1010007 0001E507
	v_rcp_f32_e32 v4, v4                                       // 000000006D9C: 7E084504
	v_rcp_f32_e32 v5, v5                                       // 000000006DA0: 7E0A4505
	v_rcp_f32_e32 v6, v6                                       // 000000006DA4: 7E0C4506
	v_rcp_f32_e32 v7, v7                                       // 000000006DA8: 7E0E4507
	v_mul_f32_e32 v136, v136, v4                               // 000000006DAC: 0B100988
	v_mul_f32_e32 v137, v137, v5                               // 000000006DB0: 0B120B89
	v_mul_f32_e32 v138, v138, v6                               // 000000006DB4: 0B140D8A
	v_mul_f32_e32 v139, v139, v7                               // 000000006DB8: 0B160F8B
	v_mul_f32_e32 v136, v136, v232                             // 000000006DBC: 0B11D188
	v_mul_f32_e32 v137, v137, v233                             // 000000006DC0: 0B13D389
	v_mul_f32_e32 v138, v138, v234                             // 000000006DC4: 0B15D58A
	v_mul_f32_e32 v139, v139, v235                             // 000000006DC8: 0B17D78B
	v_mul_f32_e64 v4, -v140, s6                                // 000000006DCC: D1050004 20000D8C
	v_mul_f32_e64 v5, -v141, s6                                // 000000006DD4: D1050005 20000D8D
	v_mul_f32_e64 v6, -v142, s6                                // 000000006DDC: D1050006 20000D8E
	v_mul_f32_e64 v7, -v143, s6                                // 000000006DE4: D1050007 20000D8F
	v_exp_f32_e32 v4, v4                                       // 000000006DEC: 7E084104
	v_exp_f32_e32 v5, v5                                       // 000000006DF0: 7E0A4105
	v_exp_f32_e32 v6, v6                                       // 000000006DF4: 7E0C4106
	v_exp_f32_e32 v7, v7                                       // 000000006DF8: 7E0E4107
	v_add_f32_e64 v4, v4, 1.0                                  // 000000006DFC: D1010004 0001E504
	v_add_f32_e64 v5, v5, 1.0                                  // 000000006E04: D1010005 0001E505
	v_add_f32_e64 v6, v6, 1.0                                  // 000000006E0C: D1010006 0001E506
	v_add_f32_e64 v7, v7, 1.0                                  // 000000006E14: D1010007 0001E507
	v_rcp_f32_e32 v4, v4                                       // 000000006E1C: 7E084504
	v_rcp_f32_e32 v5, v5                                       // 000000006E20: 7E0A4505
	v_rcp_f32_e32 v6, v6                                       // 000000006E24: 7E0C4506
	v_rcp_f32_e32 v7, v7                                       // 000000006E28: 7E0E4507
	v_mul_f32_e32 v140, v140, v4                               // 000000006E2C: 0B18098C
	v_mul_f32_e32 v141, v141, v5                               // 000000006E30: 0B1A0B8D
	v_mul_f32_e32 v142, v142, v6                               // 000000006E34: 0B1C0D8E
	v_mul_f32_e32 v143, v143, v7                               // 000000006E38: 0B1E0F8F
	v_mul_f32_e32 v140, v140, v236                             // 000000006E3C: 0B19D98C
	v_mul_f32_e32 v141, v141, v237                             // 000000006E40: 0B1BDB8D
	v_mul_f32_e32 v142, v142, v238                             // 000000006E44: 0B1DDD8E
	v_mul_f32_e32 v143, v143, v239                             // 000000006E48: 0B1FDF8F
	v_mul_f32_e64 v4, -v144, s6                                // 000000006E4C: D1050004 20000D90
	v_mul_f32_e64 v5, -v145, s6                                // 000000006E54: D1050005 20000D91
	v_mul_f32_e64 v6, -v146, s6                                // 000000006E5C: D1050006 20000D92
	v_mul_f32_e64 v7, -v147, s6                                // 000000006E64: D1050007 20000D93
	v_exp_f32_e32 v4, v4                                       // 000000006E6C: 7E084104
	v_exp_f32_e32 v5, v5                                       // 000000006E70: 7E0A4105
	v_exp_f32_e32 v6, v6                                       // 000000006E74: 7E0C4106
	v_exp_f32_e32 v7, v7                                       // 000000006E78: 7E0E4107
	v_add_f32_e64 v4, v4, 1.0                                  // 000000006E7C: D1010004 0001E504
	v_add_f32_e64 v5, v5, 1.0                                  // 000000006E84: D1010005 0001E505
	v_add_f32_e64 v6, v6, 1.0                                  // 000000006E8C: D1010006 0001E506
	v_add_f32_e64 v7, v7, 1.0                                  // 000000006E94: D1010007 0001E507
	v_rcp_f32_e32 v4, v4                                       // 000000006E9C: 7E084504
	v_rcp_f32_e32 v5, v5                                       // 000000006EA0: 7E0A4505
	v_rcp_f32_e32 v6, v6                                       // 000000006EA4: 7E0C4506
	v_rcp_f32_e32 v7, v7                                       // 000000006EA8: 7E0E4507
	v_mul_f32_e32 v144, v144, v4                               // 000000006EAC: 0B200990
	v_mul_f32_e32 v145, v145, v5                               // 000000006EB0: 0B220B91
	v_mul_f32_e32 v146, v146, v6                               // 000000006EB4: 0B240D92
	v_mul_f32_e32 v147, v147, v7                               // 000000006EB8: 0B260F93
	v_mul_f32_e32 v144, v144, v240                             // 000000006EBC: 0B21E190
	v_mul_f32_e32 v145, v145, v241                             // 000000006EC0: 0B23E391
	v_mul_f32_e32 v146, v146, v242                             // 000000006EC4: 0B25E592
	v_mul_f32_e32 v147, v147, v243                             // 000000006EC8: 0B27E793
	v_mul_f32_e64 v4, -v148, s6                                // 000000006ECC: D1050004 20000D94
	v_mul_f32_e64 v5, -v149, s6                                // 000000006ED4: D1050005 20000D95
	v_mul_f32_e64 v6, -v150, s6                                // 000000006EDC: D1050006 20000D96
	v_mul_f32_e64 v7, -v151, s6                                // 000000006EE4: D1050007 20000D97
	v_exp_f32_e32 v4, v4                                       // 000000006EEC: 7E084104
	v_exp_f32_e32 v5, v5                                       // 000000006EF0: 7E0A4105
	v_exp_f32_e32 v6, v6                                       // 000000006EF4: 7E0C4106
	v_exp_f32_e32 v7, v7                                       // 000000006EF8: 7E0E4107
	v_add_f32_e64 v4, v4, 1.0                                  // 000000006EFC: D1010004 0001E504
	v_add_f32_e64 v5, v5, 1.0                                  // 000000006F04: D1010005 0001E505
	v_add_f32_e64 v6, v6, 1.0                                  // 000000006F0C: D1010006 0001E506
	v_add_f32_e64 v7, v7, 1.0                                  // 000000006F14: D1010007 0001E507
	v_rcp_f32_e32 v4, v4                                       // 000000006F1C: 7E084504
	v_rcp_f32_e32 v5, v5                                       // 000000006F20: 7E0A4505
	v_rcp_f32_e32 v6, v6                                       // 000000006F24: 7E0C4506
	v_rcp_f32_e32 v7, v7                                       // 000000006F28: 7E0E4507
	v_mul_f32_e32 v148, v148, v4                               // 000000006F2C: 0B280994
	v_mul_f32_e32 v149, v149, v5                               // 000000006F30: 0B2A0B95
	v_mul_f32_e32 v150, v150, v6                               // 000000006F34: 0B2C0D96
	v_mul_f32_e32 v151, v151, v7                               // 000000006F38: 0B2E0F97
	v_mul_f32_e32 v148, v148, v244                             // 000000006F3C: 0B29E994
	v_mul_f32_e32 v149, v149, v245                             // 000000006F40: 0B2BEB95
	v_mul_f32_e32 v150, v150, v246                             // 000000006F44: 0B2DED96
	v_mul_f32_e32 v151, v151, v247                             // 000000006F48: 0B2FEF97

0000000000006f4c <label_1153>:
	s_cmp_eq_u32 s7, 0                                         // 000000006F4C: BF068007
	s_cbranch_scc0 label_1160                                  // 000000006F50: BF84000B
	v_and_b32_e32 v4, 15, v0                                   // 000000006F54: 2608008F
	v_lshlrev_b32_e32 v4, 2, v4                                // 000000006F58: 24080882
	buffer_load_dword v28, v4, s[12:15], 0 offen               // 000000006F5C: E0501000 80031C04
	v_add_u32_e32 v4, 64, v4                                   // 000000006F64: 680808C0
	buffer_load_dword v29, v4, s[12:15], 0 offen               // 000000006F68: E0501000 80031D04
	v_add_u32_e32 v4, 64, v4                                   // 000000006F70: 680808C0
	buffer_load_dword v30, v4, s[12:15], 0 offen               // 000000006F74: E0501000 80031E04
	v_add_u32_e32 v4, 64, v4                                   // 000000006F7C: 680808C0

0000000000006f80 <label_1160>:
	v_lshlrev_b32_e32 v4, 2, v0                                // 000000006F80: 24080082
	s_mul_i32 s60, 0x100, s7                                   // 000000006F84: 923C07FF 00000100
	v_add_u32_e32 v164, s60, v4                                // 000000006F8C: 6948083C
	v_and_b32_e32 v4, 15, v0                                   // 000000006F90: 2608008F
	v_lshlrev_b32_e32 v165, 2, v4                              // 000000006F94: 254A0882
	s_waitcnt lgkmcnt(0)                                       // 000000006F98: BF8CC07F
	s_barrier                                                  // 000000006F9C: BF8A0000
	v_mov_b32_e32 v152, 0x358637bd                             // 000000006FA0: 7F3002FF 358637BD
	v_max3_f32 v152, |v56|, |v57|, v152                        // 000000006FA8: D1D30398 06627338
	v_max3_f32 v152, |v58|, |v59|, v152                        // 000000006FB0: D1D30398 0662773A
	v_max3_f32 v152, |v68|, |v69|, v152                        // 000000006FB8: D1D30398 06628B44
	v_max3_f32 v152, |v70|, |v71|, v152                        // 000000006FC0: D1D30398 06628F46
	ds_write_b32 v164, v152                                    // 000000006FC8: D81A0000 000098A4
	s_waitcnt lgkmcnt(0)                                       // 000000006FD0: BF8CC07F
	s_barrier                                                  // 000000006FD4: BF8A0000
	ds_read_b32 v4, v165                                       // 000000006FD8: D86C0000 040000A5
	ds_read_b32 v5, v165 offset:64                             // 000000006FE0: D86C0040 050000A5
	ds_read_b32 v6, v165 offset:128                            // 000000006FE8: D86C0080 060000A5
	ds_read_b32 v7, v165 offset:192                            // 000000006FF0: D86C00C0 070000A5
	ds_read_b32 v8, v165 offset:256                            // 000000006FF8: D86C0100 080000A5
	ds_read_b32 v9, v165 offset:320                            // 000000007000: D86C0140 090000A5
	ds_read_b32 v10, v165 offset:384                           // 000000007008: D86C0180 0A0000A5
	ds_read_b32 v11, v165 offset:448                           // 000000007010: D86C01C0 0B0000A5
	ds_read_b32 v12, v165 offset:512                           // 000000007018: D86C0200 0C0000A5
	ds_read_b32 v13, v165 offset:576                           // 000000007020: D86C0240 0D0000A5
	ds_read_b32 v14, v165 offset:640                           // 000000007028: D86C0280 0E0000A5
	ds_read_b32 v15, v165 offset:704                           // 000000007030: D86C02C0 0F0000A5
	ds_read_b32 v16, v165 offset:768                           // 000000007038: D86C0300 100000A5
	ds_read_b32 v17, v165 offset:832                           // 000000007040: D86C0340 110000A5
	ds_read_b32 v18, v165 offset:896                           // 000000007048: D86C0380 120000A5
	ds_read_b32 v19, v165 offset:960                           // 000000007050: D86C03C0 130000A5
	s_waitcnt lgkmcnt(0)                                       // 000000007058: BF8CC07F
	s_barrier                                                  // 00000000705C: BF8A0000
	v_max3_f32 v152, |v4|, |v5|, v152                          // 000000007060: D1D30398 06620B04
	v_max3_f32 v152, |v6|, |v7|, v152                          // 000000007068: D1D30398 06620F06
	v_max3_f32 v152, |v8|, |v9|, v152                          // 000000007070: D1D30398 06621308
	v_max3_f32 v152, |v10|, |v11|, v152                        // 000000007078: D1D30398 0662170A
	v_max3_f32 v152, |v12|, |v13|, v152                        // 000000007080: D1D30398 06621B0C
	v_max3_f32 v152, |v14|, |v15|, v152                        // 000000007088: D1D30398 06621F0E
	v_max3_f32 v152, |v16|, |v17|, v152                        // 000000007090: D1D30398 06622310
	v_max3_f32 v152, |v18|, |v19|, v152                        // 000000007098: D1D30398 06622712
	v_rcp_f32_e32 v152, v152                                   // 0000000070A0: 7F304598
	v_mov_b32_e32 v4, 0x43700000                               // 0000000070A4: 7E0802FF 43700000
	v_mul_f32_e32 v152, v4, v152                               // 0000000070AC: 0B313104
	v_mov_b32_e32 v4, v152                                     // 0000000070B0: 7E080398
	v_mov_b32_e32 v5, v4                                       // 0000000070B4: 7E0A0304
	v_pk_mul_f32 v[56:57], v[4:5], v[56:57]                    // 0000000070B8: D3B14038 18027104
	v_pk_mul_f32 v[58:59], v[4:5], v[58:59]                    // 0000000070C0: D3B1403A 18027504
	v_cvt_pk_fp8_f32 v56, v56, v57                             // 0000000070C8: D2A20038 00027338
	v_cvt_pk_fp8_f32 v56, v58, v59 op_sel:[0,0,1]              // 0000000070D0: D2A24038 0002773A
	v_pk_mul_f32 v[68:69], v[4:5], v[68:69]                    // 0000000070D8: D3B14044 18028904
	v_pk_mul_f32 v[70:71], v[4:5], v[70:71]                    // 0000000070E0: D3B14046 18028D04
	v_cvt_pk_fp8_f32 v68, v68, v69                             // 0000000070E8: D2A20044 00028B44
	v_cvt_pk_fp8_f32 v68, v70, v71 op_sel:[0,0,1]              // 0000000070F0: D2A24044 00028F46
	v_rcp_f32_e32 v152, v152                                   // 0000000070F8: 7F304598
	v_mov_b32_e32 v155, 0x358637bd                             // 0000000070FC: 7F3602FF 358637BD
	v_max3_f32 v155, |v80|, |v81|, v155                        // 000000007104: D1D3039B 066EA350
	v_max3_f32 v155, |v82|, |v83|, v155                        // 00000000710C: D1D3039B 066EA752
	v_max3_f32 v155, |v92|, |v93|, v155                        // 000000007114: D1D3039B 066EBB5C
	v_max3_f32 v155, |v94|, |v95|, v155                        // 00000000711C: D1D3039B 066EBF5E
	ds_write_b32 v164, v155                                    // 000000007124: D81A0000 00009BA4
	s_waitcnt lgkmcnt(0)                                       // 00000000712C: BF8CC07F
	s_barrier                                                  // 000000007130: BF8A0000
	ds_read_b32 v4, v165                                       // 000000007134: D86C0000 040000A5
	ds_read_b32 v5, v165 offset:64                             // 00000000713C: D86C0040 050000A5
	ds_read_b32 v6, v165 offset:128                            // 000000007144: D86C0080 060000A5
	ds_read_b32 v7, v165 offset:192                            // 00000000714C: D86C00C0 070000A5
	ds_read_b32 v8, v165 offset:256                            // 000000007154: D86C0100 080000A5
	ds_read_b32 v9, v165 offset:320                            // 00000000715C: D86C0140 090000A5
	ds_read_b32 v10, v165 offset:384                           // 000000007164: D86C0180 0A0000A5
	ds_read_b32 v11, v165 offset:448                           // 00000000716C: D86C01C0 0B0000A5
	ds_read_b32 v12, v165 offset:512                           // 000000007174: D86C0200 0C0000A5
	ds_read_b32 v13, v165 offset:576                           // 00000000717C: D86C0240 0D0000A5
	ds_read_b32 v14, v165 offset:640                           // 000000007184: D86C0280 0E0000A5
	ds_read_b32 v15, v165 offset:704                           // 00000000718C: D86C02C0 0F0000A5
	ds_read_b32 v16, v165 offset:768                           // 000000007194: D86C0300 100000A5
	ds_read_b32 v17, v165 offset:832                           // 00000000719C: D86C0340 110000A5
	ds_read_b32 v18, v165 offset:896                           // 0000000071A4: D86C0380 120000A5
	ds_read_b32 v19, v165 offset:960                           // 0000000071AC: D86C03C0 130000A5
	s_waitcnt lgkmcnt(0)                                       // 0000000071B4: BF8CC07F
	s_barrier                                                  // 0000000071B8: BF8A0000
	v_max3_f32 v155, |v4|, |v5|, v155                          // 0000000071BC: D1D3039B 066E0B04
	v_max3_f32 v155, |v6|, |v7|, v155                          // 0000000071C4: D1D3039B 066E0F06
	v_max3_f32 v155, |v8|, |v9|, v155                          // 0000000071CC: D1D3039B 066E1308
	v_max3_f32 v155, |v10|, |v11|, v155                        // 0000000071D4: D1D3039B 066E170A
	v_max3_f32 v155, |v12|, |v13|, v155                        // 0000000071DC: D1D3039B 066E1B0C
	v_max3_f32 v155, |v14|, |v15|, v155                        // 0000000071E4: D1D3039B 066E1F0E
	v_max3_f32 v155, |v16|, |v17|, v155                        // 0000000071EC: D1D3039B 066E2310
	v_max3_f32 v155, |v18|, |v19|, v155                        // 0000000071F4: D1D3039B 066E2712
	v_rcp_f32_e32 v155, v155                                   // 0000000071FC: 7F36459B
	v_mov_b32_e32 v4, 0x43700000                               // 000000007200: 7E0802FF 43700000
	v_mul_f32_e32 v155, v4, v155                               // 000000007208: 0B373704
	v_mov_b32_e32 v4, v155                                     // 00000000720C: 7E08039B
	v_mov_b32_e32 v5, v4                                       // 000000007210: 7E0A0304
	v_pk_mul_f32 v[80:81], v[4:5], v[80:81]                    // 000000007214: D3B14050 1802A104
	v_pk_mul_f32 v[82:83], v[4:5], v[82:83]                    // 00000000721C: D3B14052 1802A504
	v_cvt_pk_fp8_f32 v80, v80, v81                             // 000000007224: D2A20050 0002A350
	v_cvt_pk_fp8_f32 v80, v82, v83 op_sel:[0,0,1]              // 00000000722C: D2A24050 0002A752
	v_pk_mul_f32 v[92:93], v[4:5], v[92:93]                    // 000000007234: D3B1405C 1802B904
	v_pk_mul_f32 v[94:95], v[4:5], v[94:95]                    // 00000000723C: D3B1405E 1802BD04
	v_cvt_pk_fp8_f32 v92, v92, v93                             // 000000007244: D2A2005C 0002BB5C
	v_cvt_pk_fp8_f32 v92, v94, v95 op_sel:[0,0,1]              // 00000000724C: D2A2405C 0002BF5E
	v_rcp_f32_e32 v155, v155                                   // 000000007254: 7F36459B
	v_mov_b32_e32 v158, 0x358637bd                             // 000000007258: 7F3C02FF 358637BD
	v_max3_f32 v158, |v104|, |v105|, v158                      // 000000007260: D1D3039E 067AD368
	v_max3_f32 v158, |v106|, |v107|, v158                      // 000000007268: D1D3039E 067AD76A
	v_max3_f32 v158, |v116|, |v117|, v158                      // 000000007270: D1D3039E 067AEB74
	v_max3_f32 v158, |v118|, |v119|, v158                      // 000000007278: D1D3039E 067AEF76
	ds_write_b32 v164, v158                                    // 000000007280: D81A0000 00009EA4
	s_waitcnt lgkmcnt(0)                                       // 000000007288: BF8CC07F
	s_barrier                                                  // 00000000728C: BF8A0000
	ds_read_b32 v4, v165                                       // 000000007290: D86C0000 040000A5
	ds_read_b32 v5, v165 offset:64                             // 000000007298: D86C0040 050000A5
	ds_read_b32 v6, v165 offset:128                            // 0000000072A0: D86C0080 060000A5
	ds_read_b32 v7, v165 offset:192                            // 0000000072A8: D86C00C0 070000A5
	ds_read_b32 v8, v165 offset:256                            // 0000000072B0: D86C0100 080000A5
	ds_read_b32 v9, v165 offset:320                            // 0000000072B8: D86C0140 090000A5
	ds_read_b32 v10, v165 offset:384                           // 0000000072C0: D86C0180 0A0000A5
	ds_read_b32 v11, v165 offset:448                           // 0000000072C8: D86C01C0 0B0000A5
	ds_read_b32 v12, v165 offset:512                           // 0000000072D0: D86C0200 0C0000A5
	ds_read_b32 v13, v165 offset:576                           // 0000000072D8: D86C0240 0D0000A5
	ds_read_b32 v14, v165 offset:640                           // 0000000072E0: D86C0280 0E0000A5
	ds_read_b32 v15, v165 offset:704                           // 0000000072E8: D86C02C0 0F0000A5
	ds_read_b32 v16, v165 offset:768                           // 0000000072F0: D86C0300 100000A5
	ds_read_b32 v17, v165 offset:832                           // 0000000072F8: D86C0340 110000A5
	ds_read_b32 v18, v165 offset:896                           // 000000007300: D86C0380 120000A5
	ds_read_b32 v19, v165 offset:960                           // 000000007308: D86C03C0 130000A5
	s_waitcnt lgkmcnt(0)                                       // 000000007310: BF8CC07F
	s_barrier                                                  // 000000007314: BF8A0000
	v_max3_f32 v158, |v4|, |v5|, v158                          // 000000007318: D1D3039E 067A0B04
	v_max3_f32 v158, |v6|, |v7|, v158                          // 000000007320: D1D3039E 067A0F06
	v_max3_f32 v158, |v8|, |v9|, v158                          // 000000007328: D1D3039E 067A1308
	v_max3_f32 v158, |v10|, |v11|, v158                        // 000000007330: D1D3039E 067A170A
	v_max3_f32 v158, |v12|, |v13|, v158                        // 000000007338: D1D3039E 067A1B0C
	v_max3_f32 v158, |v14|, |v15|, v158                        // 000000007340: D1D3039E 067A1F0E
	v_max3_f32 v158, |v16|, |v17|, v158                        // 000000007348: D1D3039E 067A2310
	v_max3_f32 v158, |v18|, |v19|, v158                        // 000000007350: D1D3039E 067A2712
	v_rcp_f32_e32 v158, v158                                   // 000000007358: 7F3C459E
	v_mov_b32_e32 v4, 0x43700000                               // 00000000735C: 7E0802FF 43700000
	v_mul_f32_e32 v158, v4, v158                               // 000000007364: 0B3D3D04
	v_mov_b32_e32 v4, v158                                     // 000000007368: 7E08039E
	v_mov_b32_e32 v5, v4                                       // 00000000736C: 7E0A0304
	v_pk_mul_f32 v[104:105], v[4:5], v[104:105]                // 000000007370: D3B14068 1802D104
	v_pk_mul_f32 v[106:107], v[4:5], v[106:107]                // 000000007378: D3B1406A 1802D504
	v_cvt_pk_fp8_f32 v104, v104, v105                          // 000000007380: D2A20068 0002D368
	v_cvt_pk_fp8_f32 v104, v106, v107 op_sel:[0,0,1]           // 000000007388: D2A24068 0002D76A
	v_pk_mul_f32 v[116:117], v[4:5], v[116:117]                // 000000007390: D3B14074 1802E904
	v_pk_mul_f32 v[118:119], v[4:5], v[118:119]                // 000000007398: D3B14076 1802ED04
	v_cvt_pk_fp8_f32 v116, v116, v117                          // 0000000073A0: D2A20074 0002EB74
	v_cvt_pk_fp8_f32 v116, v118, v119 op_sel:[0,0,1]           // 0000000073A8: D2A24074 0002EF76
	v_rcp_f32_e32 v158, v158                                   // 0000000073B0: 7F3C459E
	v_mov_b32_e32 v161, 0x358637bd                             // 0000000073B4: 7F4202FF 358637BD
	v_max3_f32 v161, |v128|, |v129|, v161                      // 0000000073BC: D1D303A1 06870380
	v_max3_f32 v161, |v130|, |v131|, v161                      // 0000000073C4: D1D303A1 06870782
	v_max3_f32 v161, |v140|, |v141|, v161                      // 0000000073CC: D1D303A1 06871B8C
	v_max3_f32 v161, |v142|, |v143|, v161                      // 0000000073D4: D1D303A1 06871F8E
	ds_write_b32 v164, v161                                    // 0000000073DC: D81A0000 0000A1A4
	s_waitcnt lgkmcnt(0)                                       // 0000000073E4: BF8CC07F
	s_barrier                                                  // 0000000073E8: BF8A0000
	ds_read_b32 v4, v165                                       // 0000000073EC: D86C0000 040000A5
	ds_read_b32 v5, v165 offset:64                             // 0000000073F4: D86C0040 050000A5
	ds_read_b32 v6, v165 offset:128                            // 0000000073FC: D86C0080 060000A5
	ds_read_b32 v7, v165 offset:192                            // 000000007404: D86C00C0 070000A5
	ds_read_b32 v8, v165 offset:256                            // 00000000740C: D86C0100 080000A5
	ds_read_b32 v9, v165 offset:320                            // 000000007414: D86C0140 090000A5
	ds_read_b32 v10, v165 offset:384                           // 00000000741C: D86C0180 0A0000A5
	ds_read_b32 v11, v165 offset:448                           // 000000007424: D86C01C0 0B0000A5
	ds_read_b32 v12, v165 offset:512                           // 00000000742C: D86C0200 0C0000A5
	ds_read_b32 v13, v165 offset:576                           // 000000007434: D86C0240 0D0000A5
	ds_read_b32 v14, v165 offset:640                           // 00000000743C: D86C0280 0E0000A5
	ds_read_b32 v15, v165 offset:704                           // 000000007444: D86C02C0 0F0000A5
	ds_read_b32 v16, v165 offset:768                           // 00000000744C: D86C0300 100000A5
	ds_read_b32 v17, v165 offset:832                           // 000000007454: D86C0340 110000A5
	ds_read_b32 v18, v165 offset:896                           // 00000000745C: D86C0380 120000A5
	ds_read_b32 v19, v165 offset:960                           // 000000007464: D86C03C0 130000A5
	s_waitcnt lgkmcnt(0)                                       // 00000000746C: BF8CC07F
	s_barrier                                                  // 000000007470: BF8A0000
	v_max3_f32 v161, |v4|, |v5|, v161                          // 000000007474: D1D303A1 06860B04
	v_max3_f32 v161, |v6|, |v7|, v161                          // 00000000747C: D1D303A1 06860F06
	v_max3_f32 v161, |v8|, |v9|, v161                          // 000000007484: D1D303A1 06861308
	v_max3_f32 v161, |v10|, |v11|, v161                        // 00000000748C: D1D303A1 0686170A
	v_max3_f32 v161, |v12|, |v13|, v161                        // 000000007494: D1D303A1 06861B0C
	v_max3_f32 v161, |v14|, |v15|, v161                        // 00000000749C: D1D303A1 06861F0E
	v_max3_f32 v161, |v16|, |v17|, v161                        // 0000000074A4: D1D303A1 06862310
	v_max3_f32 v161, |v18|, |v19|, v161                        // 0000000074AC: D1D303A1 06862712
	v_rcp_f32_e32 v161, v161                                   // 0000000074B4: 7F4245A1
	v_mov_b32_e32 v4, 0x43700000                               // 0000000074B8: 7E0802FF 43700000
	v_mul_f32_e32 v161, v4, v161                               // 0000000074C0: 0B434304
	v_mov_b32_e32 v4, v161                                     // 0000000074C4: 7E0803A1
	v_mov_b32_e32 v5, v4                                       // 0000000074C8: 7E0A0304
	v_pk_mul_f32 v[128:129], v[4:5], v[128:129]                // 0000000074CC: D3B14080 18030104
	v_pk_mul_f32 v[130:131], v[4:5], v[130:131]                // 0000000074D4: D3B14082 18030504
	v_cvt_pk_fp8_f32 v128, v128, v129                          // 0000000074DC: D2A20080 00030380
	v_cvt_pk_fp8_f32 v128, v130, v131 op_sel:[0,0,1]           // 0000000074E4: D2A24080 00030782
	v_pk_mul_f32 v[140:141], v[4:5], v[140:141]                // 0000000074EC: D3B1408C 18031904
	v_pk_mul_f32 v[142:143], v[4:5], v[142:143]                // 0000000074F4: D3B1408E 18031D04
	v_cvt_pk_fp8_f32 v140, v140, v141                          // 0000000074FC: D2A2008C 00031B8C
	v_cvt_pk_fp8_f32 v140, v142, v143 op_sel:[0,0,1]           // 000000007504: D2A2408C 00031F8E
	v_rcp_f32_e32 v161, v161                                   // 00000000750C: 7F4245A1
	v_mov_b32_e32 v153, 0x358637bd                             // 000000007510: 7F3202FF 358637BD
	v_max3_f32 v153, |v60|, |v61|, v153                        // 000000007518: D1D30399 06667B3C
	v_max3_f32 v153, |v62|, |v63|, v153                        // 000000007520: D1D30399 06667F3E
	v_max3_f32 v153, |v72|, |v73|, v153                        // 000000007528: D1D30399 06669348
	v_max3_f32 v153, |v74|, |v75|, v153                        // 000000007530: D1D30399 0666974A
	ds_write_b32 v164, v153                                    // 000000007538: D81A0000 000099A4
	s_waitcnt lgkmcnt(0)                                       // 000000007540: BF8CC07F
	s_barrier                                                  // 000000007544: BF8A0000
	ds_read_b32 v4, v165                                       // 000000007548: D86C0000 040000A5
	ds_read_b32 v5, v165 offset:64                             // 000000007550: D86C0040 050000A5
	ds_read_b32 v6, v165 offset:128                            // 000000007558: D86C0080 060000A5
	ds_read_b32 v7, v165 offset:192                            // 000000007560: D86C00C0 070000A5
	ds_read_b32 v8, v165 offset:256                            // 000000007568: D86C0100 080000A5
	ds_read_b32 v9, v165 offset:320                            // 000000007570: D86C0140 090000A5
	ds_read_b32 v10, v165 offset:384                           // 000000007578: D86C0180 0A0000A5
	ds_read_b32 v11, v165 offset:448                           // 000000007580: D86C01C0 0B0000A5
	ds_read_b32 v12, v165 offset:512                           // 000000007588: D86C0200 0C0000A5
	ds_read_b32 v13, v165 offset:576                           // 000000007590: D86C0240 0D0000A5
	ds_read_b32 v14, v165 offset:640                           // 000000007598: D86C0280 0E0000A5
	ds_read_b32 v15, v165 offset:704                           // 0000000075A0: D86C02C0 0F0000A5
	ds_read_b32 v16, v165 offset:768                           // 0000000075A8: D86C0300 100000A5
	ds_read_b32 v17, v165 offset:832                           // 0000000075B0: D86C0340 110000A5
	ds_read_b32 v18, v165 offset:896                           // 0000000075B8: D86C0380 120000A5
	ds_read_b32 v19, v165 offset:960                           // 0000000075C0: D86C03C0 130000A5
	s_waitcnt lgkmcnt(0)                                       // 0000000075C8: BF8CC07F
	s_barrier                                                  // 0000000075CC: BF8A0000
	v_max3_f32 v153, |v4|, |v5|, v153                          // 0000000075D0: D1D30399 06660B04
	v_max3_f32 v153, |v6|, |v7|, v153                          // 0000000075D8: D1D30399 06660F06
	v_max3_f32 v153, |v8|, |v9|, v153                          // 0000000075E0: D1D30399 06661308
	v_max3_f32 v153, |v10|, |v11|, v153                        // 0000000075E8: D1D30399 0666170A
	v_max3_f32 v153, |v12|, |v13|, v153                        // 0000000075F0: D1D30399 06661B0C
	v_max3_f32 v153, |v14|, |v15|, v153                        // 0000000075F8: D1D30399 06661F0E
	v_max3_f32 v153, |v16|, |v17|, v153                        // 000000007600: D1D30399 06662310
	v_max3_f32 v153, |v18|, |v19|, v153                        // 000000007608: D1D30399 06662712
	v_rcp_f32_e32 v153, v153                                   // 000000007610: 7F324599
	v_mov_b32_e32 v4, 0x43700000                               // 000000007614: 7E0802FF 43700000
	v_mul_f32_e32 v153, v4, v153                               // 00000000761C: 0B333304
	v_mov_b32_e32 v4, v153                                     // 000000007620: 7E080399
	v_mov_b32_e32 v5, v4                                       // 000000007624: 7E0A0304
	v_pk_mul_f32 v[60:61], v[4:5], v[60:61]                    // 000000007628: D3B1403C 18027904
	v_pk_mul_f32 v[62:63], v[4:5], v[62:63]                    // 000000007630: D3B1403E 18027D04
	v_cvt_pk_fp8_f32 v60, v60, v61                             // 000000007638: D2A2003C 00027B3C
	v_cvt_pk_fp8_f32 v60, v62, v63 op_sel:[0,0,1]              // 000000007640: D2A2403C 00027F3E
	v_pk_mul_f32 v[72:73], v[4:5], v[72:73]                    // 000000007648: D3B14048 18029104
	v_pk_mul_f32 v[74:75], v[4:5], v[74:75]                    // 000000007650: D3B1404A 18029504
	v_cvt_pk_fp8_f32 v72, v72, v73                             // 000000007658: D2A20048 00029348
	v_cvt_pk_fp8_f32 v72, v74, v75 op_sel:[0,0,1]              // 000000007660: D2A24048 0002974A
	v_rcp_f32_e32 v153, v153                                   // 000000007668: 7F324599
	v_mov_b32_e32 v156, 0x358637bd                             // 00000000766C: 7F3802FF 358637BD
	v_max3_f32 v156, |v84|, |v85|, v156                        // 000000007674: D1D3039C 0672AB54
	v_max3_f32 v156, |v86|, |v87|, v156                        // 00000000767C: D1D3039C 0672AF56
	v_max3_f32 v156, |v96|, |v97|, v156                        // 000000007684: D1D3039C 0672C360
	v_max3_f32 v156, |v98|, |v99|, v156                        // 00000000768C: D1D3039C 0672C762
	ds_write_b32 v164, v156                                    // 000000007694: D81A0000 00009CA4
	s_waitcnt lgkmcnt(0)                                       // 00000000769C: BF8CC07F
	s_barrier                                                  // 0000000076A0: BF8A0000
	ds_read_b32 v4, v165                                       // 0000000076A4: D86C0000 040000A5
	ds_read_b32 v5, v165 offset:64                             // 0000000076AC: D86C0040 050000A5
	ds_read_b32 v6, v165 offset:128                            // 0000000076B4: D86C0080 060000A5
	ds_read_b32 v7, v165 offset:192                            // 0000000076BC: D86C00C0 070000A5
	ds_read_b32 v8, v165 offset:256                            // 0000000076C4: D86C0100 080000A5
	ds_read_b32 v9, v165 offset:320                            // 0000000076CC: D86C0140 090000A5
	ds_read_b32 v10, v165 offset:384                           // 0000000076D4: D86C0180 0A0000A5
	ds_read_b32 v11, v165 offset:448                           // 0000000076DC: D86C01C0 0B0000A5
	ds_read_b32 v12, v165 offset:512                           // 0000000076E4: D86C0200 0C0000A5
	ds_read_b32 v13, v165 offset:576                           // 0000000076EC: D86C0240 0D0000A5
	ds_read_b32 v14, v165 offset:640                           // 0000000076F4: D86C0280 0E0000A5
	ds_read_b32 v15, v165 offset:704                           // 0000000076FC: D86C02C0 0F0000A5
	ds_read_b32 v16, v165 offset:768                           // 000000007704: D86C0300 100000A5
	ds_read_b32 v17, v165 offset:832                           // 00000000770C: D86C0340 110000A5
	ds_read_b32 v18, v165 offset:896                           // 000000007714: D86C0380 120000A5
	ds_read_b32 v19, v165 offset:960                           // 00000000771C: D86C03C0 130000A5
	s_waitcnt lgkmcnt(0)                                       // 000000007724: BF8CC07F
	s_barrier                                                  // 000000007728: BF8A0000
	v_max3_f32 v156, |v4|, |v5|, v156                          // 00000000772C: D1D3039C 06720B04
	v_max3_f32 v156, |v6|, |v7|, v156                          // 000000007734: D1D3039C 06720F06
	v_max3_f32 v156, |v8|, |v9|, v156                          // 00000000773C: D1D3039C 06721308
	v_max3_f32 v156, |v10|, |v11|, v156                        // 000000007744: D1D3039C 0672170A
	v_max3_f32 v156, |v12|, |v13|, v156                        // 00000000774C: D1D3039C 06721B0C
	v_max3_f32 v156, |v14|, |v15|, v156                        // 000000007754: D1D3039C 06721F0E
	v_max3_f32 v156, |v16|, |v17|, v156                        // 00000000775C: D1D3039C 06722310
	v_max3_f32 v156, |v18|, |v19|, v156                        // 000000007764: D1D3039C 06722712
	v_rcp_f32_e32 v156, v156                                   // 00000000776C: 7F38459C
	v_mov_b32_e32 v4, 0x43700000                               // 000000007770: 7E0802FF 43700000
	v_mul_f32_e32 v156, v4, v156                               // 000000007778: 0B393904
	v_mov_b32_e32 v4, v156                                     // 00000000777C: 7E08039C
	v_mov_b32_e32 v5, v4                                       // 000000007780: 7E0A0304
	v_pk_mul_f32 v[84:85], v[4:5], v[84:85]                    // 000000007784: D3B14054 1802A904
	v_pk_mul_f32 v[86:87], v[4:5], v[86:87]                    // 00000000778C: D3B14056 1802AD04
	v_cvt_pk_fp8_f32 v84, v84, v85                             // 000000007794: D2A20054 0002AB54
	v_cvt_pk_fp8_f32 v84, v86, v87 op_sel:[0,0,1]              // 00000000779C: D2A24054 0002AF56
	v_pk_mul_f32 v[96:97], v[4:5], v[96:97]                    // 0000000077A4: D3B14060 1802C104
	v_pk_mul_f32 v[98:99], v[4:5], v[98:99]                    // 0000000077AC: D3B14062 1802C504
	v_cvt_pk_fp8_f32 v96, v96, v97                             // 0000000077B4: D2A20060 0002C360
	v_cvt_pk_fp8_f32 v96, v98, v99 op_sel:[0,0,1]              // 0000000077BC: D2A24060 0002C762
	v_rcp_f32_e32 v156, v156                                   // 0000000077C4: 7F38459C
	v_mov_b32_e32 v159, 0x358637bd                             // 0000000077C8: 7F3E02FF 358637BD
	v_max3_f32 v159, |v108|, |v109|, v159                      // 0000000077D0: D1D3039F 067EDB6C
	v_max3_f32 v159, |v110|, |v111|, v159                      // 0000000077D8: D1D3039F 067EDF6E
	v_max3_f32 v159, |v120|, |v121|, v159                      // 0000000077E0: D1D3039F 067EF378
	v_max3_f32 v159, |v122|, |v123|, v159                      // 0000000077E8: D1D3039F 067EF77A
	ds_write_b32 v164, v159                                    // 0000000077F0: D81A0000 00009FA4
	s_waitcnt lgkmcnt(0)                                       // 0000000077F8: BF8CC07F
	s_barrier                                                  // 0000000077FC: BF8A0000
	ds_read_b32 v4, v165                                       // 000000007800: D86C0000 040000A5
	ds_read_b32 v5, v165 offset:64                             // 000000007808: D86C0040 050000A5
	ds_read_b32 v6, v165 offset:128                            // 000000007810: D86C0080 060000A5
	ds_read_b32 v7, v165 offset:192                            // 000000007818: D86C00C0 070000A5
	ds_read_b32 v8, v165 offset:256                            // 000000007820: D86C0100 080000A5
	ds_read_b32 v9, v165 offset:320                            // 000000007828: D86C0140 090000A5
	ds_read_b32 v10, v165 offset:384                           // 000000007830: D86C0180 0A0000A5
	ds_read_b32 v11, v165 offset:448                           // 000000007838: D86C01C0 0B0000A5
	ds_read_b32 v12, v165 offset:512                           // 000000007840: D86C0200 0C0000A5
	ds_read_b32 v13, v165 offset:576                           // 000000007848: D86C0240 0D0000A5
	ds_read_b32 v14, v165 offset:640                           // 000000007850: D86C0280 0E0000A5
	ds_read_b32 v15, v165 offset:704                           // 000000007858: D86C02C0 0F0000A5
	ds_read_b32 v16, v165 offset:768                           // 000000007860: D86C0300 100000A5
	ds_read_b32 v17, v165 offset:832                           // 000000007868: D86C0340 110000A5
	ds_read_b32 v18, v165 offset:896                           // 000000007870: D86C0380 120000A5
	ds_read_b32 v19, v165 offset:960                           // 000000007878: D86C03C0 130000A5
	s_waitcnt lgkmcnt(0)                                       // 000000007880: BF8CC07F
	s_barrier                                                  // 000000007884: BF8A0000
	v_max3_f32 v159, |v4|, |v5|, v159                          // 000000007888: D1D3039F 067E0B04
	v_max3_f32 v159, |v6|, |v7|, v159                          // 000000007890: D1D3039F 067E0F06
	v_max3_f32 v159, |v8|, |v9|, v159                          // 000000007898: D1D3039F 067E1308
	v_max3_f32 v159, |v10|, |v11|, v159                        // 0000000078A0: D1D3039F 067E170A
	v_max3_f32 v159, |v12|, |v13|, v159                        // 0000000078A8: D1D3039F 067E1B0C
	v_max3_f32 v159, |v14|, |v15|, v159                        // 0000000078B0: D1D3039F 067E1F0E
	v_max3_f32 v159, |v16|, |v17|, v159                        // 0000000078B8: D1D3039F 067E2310
	v_max3_f32 v159, |v18|, |v19|, v159                        // 0000000078C0: D1D3039F 067E2712
	v_rcp_f32_e32 v159, v159                                   // 0000000078C8: 7F3E459F
	v_mov_b32_e32 v4, 0x43700000                               // 0000000078CC: 7E0802FF 43700000
	v_mul_f32_e32 v159, v4, v159                               // 0000000078D4: 0B3F3F04
	v_mov_b32_e32 v4, v159                                     // 0000000078D8: 7E08039F
	v_mov_b32_e32 v5, v4                                       // 0000000078DC: 7E0A0304
	v_pk_mul_f32 v[108:109], v[4:5], v[108:109]                // 0000000078E0: D3B1406C 1802D904
	v_pk_mul_f32 v[110:111], v[4:5], v[110:111]                // 0000000078E8: D3B1406E 1802DD04
	v_cvt_pk_fp8_f32 v108, v108, v109                          // 0000000078F0: D2A2006C 0002DB6C
	v_cvt_pk_fp8_f32 v108, v110, v111 op_sel:[0,0,1]           // 0000000078F8: D2A2406C 0002DF6E
	v_pk_mul_f32 v[120:121], v[4:5], v[120:121]                // 000000007900: D3B14078 1802F104
	v_pk_mul_f32 v[122:123], v[4:5], v[122:123]                // 000000007908: D3B1407A 1802F504
	v_cvt_pk_fp8_f32 v120, v120, v121                          // 000000007910: D2A20078 0002F378
	v_cvt_pk_fp8_f32 v120, v122, v123 op_sel:[0,0,1]           // 000000007918: D2A24078 0002F77A
	v_rcp_f32_e32 v159, v159                                   // 000000007920: 7F3E459F
	v_mov_b32_e32 v162, 0x358637bd                             // 000000007924: 7F4402FF 358637BD
	v_max3_f32 v162, |v132|, |v133|, v162                      // 00000000792C: D1D303A2 068B0B84
	v_max3_f32 v162, |v134|, |v135|, v162                      // 000000007934: D1D303A2 068B0F86
	v_max3_f32 v162, |v144|, |v145|, v162                      // 00000000793C: D1D303A2 068B2390
	v_max3_f32 v162, |v146|, |v147|, v162                      // 000000007944: D1D303A2 068B2792
	ds_write_b32 v164, v162                                    // 00000000794C: D81A0000 0000A2A4
	s_waitcnt lgkmcnt(0)                                       // 000000007954: BF8CC07F
	s_barrier                                                  // 000000007958: BF8A0000
	ds_read_b32 v4, v165                                       // 00000000795C: D86C0000 040000A5
	ds_read_b32 v5, v165 offset:64                             // 000000007964: D86C0040 050000A5
	ds_read_b32 v6, v165 offset:128                            // 00000000796C: D86C0080 060000A5
	ds_read_b32 v7, v165 offset:192                            // 000000007974: D86C00C0 070000A5
	ds_read_b32 v8, v165 offset:256                            // 00000000797C: D86C0100 080000A5
	ds_read_b32 v9, v165 offset:320                            // 000000007984: D86C0140 090000A5
	ds_read_b32 v10, v165 offset:384                           // 00000000798C: D86C0180 0A0000A5
	ds_read_b32 v11, v165 offset:448                           // 000000007994: D86C01C0 0B0000A5
	ds_read_b32 v12, v165 offset:512                           // 00000000799C: D86C0200 0C0000A5
	ds_read_b32 v13, v165 offset:576                           // 0000000079A4: D86C0240 0D0000A5
	ds_read_b32 v14, v165 offset:640                           // 0000000079AC: D86C0280 0E0000A5
	ds_read_b32 v15, v165 offset:704                           // 0000000079B4: D86C02C0 0F0000A5
	ds_read_b32 v16, v165 offset:768                           // 0000000079BC: D86C0300 100000A5
	ds_read_b32 v17, v165 offset:832                           // 0000000079C4: D86C0340 110000A5
	ds_read_b32 v18, v165 offset:896                           // 0000000079CC: D86C0380 120000A5
	ds_read_b32 v19, v165 offset:960                           // 0000000079D4: D86C03C0 130000A5
	s_waitcnt lgkmcnt(0)                                       // 0000000079DC: BF8CC07F
	s_barrier                                                  // 0000000079E0: BF8A0000
	v_max3_f32 v162, |v4|, |v5|, v162                          // 0000000079E4: D1D303A2 068A0B04
	v_max3_f32 v162, |v6|, |v7|, v162                          // 0000000079EC: D1D303A2 068A0F06
	v_max3_f32 v162, |v8|, |v9|, v162                          // 0000000079F4: D1D303A2 068A1308
	v_max3_f32 v162, |v10|, |v11|, v162                        // 0000000079FC: D1D303A2 068A170A
	v_max3_f32 v162, |v12|, |v13|, v162                        // 000000007A04: D1D303A2 068A1B0C
	v_max3_f32 v162, |v14|, |v15|, v162                        // 000000007A0C: D1D303A2 068A1F0E
	v_max3_f32 v162, |v16|, |v17|, v162                        // 000000007A14: D1D303A2 068A2310
	v_max3_f32 v162, |v18|, |v19|, v162                        // 000000007A1C: D1D303A2 068A2712
	v_rcp_f32_e32 v162, v162                                   // 000000007A24: 7F4445A2
	v_mov_b32_e32 v4, 0x43700000                               // 000000007A28: 7E0802FF 43700000
	v_mul_f32_e32 v162, v4, v162                               // 000000007A30: 0B454504
	v_mov_b32_e32 v4, v162                                     // 000000007A34: 7E0803A2
	v_mov_b32_e32 v5, v4                                       // 000000007A38: 7E0A0304
	v_pk_mul_f32 v[132:133], v[4:5], v[132:133]                // 000000007A3C: D3B14084 18030904
	v_pk_mul_f32 v[134:135], v[4:5], v[134:135]                // 000000007A44: D3B14086 18030D04
	v_cvt_pk_fp8_f32 v132, v132, v133                          // 000000007A4C: D2A20084 00030B84
	v_cvt_pk_fp8_f32 v132, v134, v135 op_sel:[0,0,1]           // 000000007A54: D2A24084 00030F86
	v_pk_mul_f32 v[144:145], v[4:5], v[144:145]                // 000000007A5C: D3B14090 18032104
	v_pk_mul_f32 v[146:147], v[4:5], v[146:147]                // 000000007A64: D3B14092 18032504
	v_cvt_pk_fp8_f32 v144, v144, v145                          // 000000007A6C: D2A20090 00032390
	v_cvt_pk_fp8_f32 v144, v146, v147 op_sel:[0,0,1]           // 000000007A74: D2A24090 00032792
	v_rcp_f32_e32 v162, v162                                   // 000000007A7C: 7F4445A2
	v_mov_b32_e32 v154, 0x358637bd                             // 000000007A80: 7F3402FF 358637BD
	v_max3_f32 v154, |v64|, |v65|, v154                        // 000000007A88: D1D3039A 066A8340
	v_max3_f32 v154, |v66|, |v67|, v154                        // 000000007A90: D1D3039A 066A8742
	v_max3_f32 v154, |v76|, |v77|, v154                        // 000000007A98: D1D3039A 066A9B4C
	v_max3_f32 v154, |v78|, |v79|, v154                        // 000000007AA0: D1D3039A 066A9F4E
	ds_write_b32 v164, v154                                    // 000000007AA8: D81A0000 00009AA4
	s_waitcnt lgkmcnt(0)                                       // 000000007AB0: BF8CC07F
	s_barrier                                                  // 000000007AB4: BF8A0000
	ds_read_b32 v4, v165                                       // 000000007AB8: D86C0000 040000A5
	ds_read_b32 v5, v165 offset:64                             // 000000007AC0: D86C0040 050000A5
	ds_read_b32 v6, v165 offset:128                            // 000000007AC8: D86C0080 060000A5
	ds_read_b32 v7, v165 offset:192                            // 000000007AD0: D86C00C0 070000A5
	ds_read_b32 v8, v165 offset:256                            // 000000007AD8: D86C0100 080000A5
	ds_read_b32 v9, v165 offset:320                            // 000000007AE0: D86C0140 090000A5
	ds_read_b32 v10, v165 offset:384                           // 000000007AE8: D86C0180 0A0000A5
	ds_read_b32 v11, v165 offset:448                           // 000000007AF0: D86C01C0 0B0000A5
	ds_read_b32 v12, v165 offset:512                           // 000000007AF8: D86C0200 0C0000A5
	ds_read_b32 v13, v165 offset:576                           // 000000007B00: D86C0240 0D0000A5
	ds_read_b32 v14, v165 offset:640                           // 000000007B08: D86C0280 0E0000A5
	ds_read_b32 v15, v165 offset:704                           // 000000007B10: D86C02C0 0F0000A5
	ds_read_b32 v16, v165 offset:768                           // 000000007B18: D86C0300 100000A5
	ds_read_b32 v17, v165 offset:832                           // 000000007B20: D86C0340 110000A5
	ds_read_b32 v18, v165 offset:896                           // 000000007B28: D86C0380 120000A5
	ds_read_b32 v19, v165 offset:960                           // 000000007B30: D86C03C0 130000A5
	s_waitcnt lgkmcnt(0)                                       // 000000007B38: BF8CC07F
	s_barrier                                                  // 000000007B3C: BF8A0000
	v_max3_f32 v154, |v4|, |v5|, v154                          // 000000007B40: D1D3039A 066A0B04
	v_max3_f32 v154, |v6|, |v7|, v154                          // 000000007B48: D1D3039A 066A0F06
	v_max3_f32 v154, |v8|, |v9|, v154                          // 000000007B50: D1D3039A 066A1308
	v_max3_f32 v154, |v10|, |v11|, v154                        // 000000007B58: D1D3039A 066A170A
	v_max3_f32 v154, |v12|, |v13|, v154                        // 000000007B60: D1D3039A 066A1B0C
	v_max3_f32 v154, |v14|, |v15|, v154                        // 000000007B68: D1D3039A 066A1F0E
	v_max3_f32 v154, |v16|, |v17|, v154                        // 000000007B70: D1D3039A 066A2310
	v_max3_f32 v154, |v18|, |v19|, v154                        // 000000007B78: D1D3039A 066A2712
	v_rcp_f32_e32 v154, v154                                   // 000000007B80: 7F34459A
	v_mov_b32_e32 v4, 0x43700000                               // 000000007B84: 7E0802FF 43700000
	v_mul_f32_e32 v154, v4, v154                               // 000000007B8C: 0B353504
	v_mov_b32_e32 v4, v154                                     // 000000007B90: 7E08039A
	v_mov_b32_e32 v5, v4                                       // 000000007B94: 7E0A0304
	v_pk_mul_f32 v[64:65], v[4:5], v[64:65]                    // 000000007B98: D3B14040 18028104
	v_pk_mul_f32 v[66:67], v[4:5], v[66:67]                    // 000000007BA0: D3B14042 18028504
	v_cvt_pk_fp8_f32 v64, v64, v65                             // 000000007BA8: D2A20040 00028340
	v_cvt_pk_fp8_f32 v64, v66, v67 op_sel:[0,0,1]              // 000000007BB0: D2A24040 00028742
	v_pk_mul_f32 v[76:77], v[4:5], v[76:77]                    // 000000007BB8: D3B1404C 18029904
	v_pk_mul_f32 v[78:79], v[4:5], v[78:79]                    // 000000007BC0: D3B1404E 18029D04
	v_cvt_pk_fp8_f32 v76, v76, v77                             // 000000007BC8: D2A2004C 00029B4C
	v_cvt_pk_fp8_f32 v76, v78, v79 op_sel:[0,0,1]              // 000000007BD0: D2A2404C 00029F4E
	v_rcp_f32_e32 v154, v154                                   // 000000007BD8: 7F34459A
	v_mov_b32_e32 v157, 0x358637bd                             // 000000007BDC: 7F3A02FF 358637BD
	v_max3_f32 v157, |v88|, |v89|, v157                        // 000000007BE4: D1D3039D 0676B358
	v_max3_f32 v157, |v90|, |v91|, v157                        // 000000007BEC: D1D3039D 0676B75A
	v_max3_f32 v157, |v100|, |v101|, v157                      // 000000007BF4: D1D3039D 0676CB64
	v_max3_f32 v157, |v102|, |v103|, v157                      // 000000007BFC: D1D3039D 0676CF66
	ds_write_b32 v164, v157                                    // 000000007C04: D81A0000 00009DA4
	s_waitcnt lgkmcnt(0)                                       // 000000007C0C: BF8CC07F
	s_barrier                                                  // 000000007C10: BF8A0000
	ds_read_b32 v4, v165                                       // 000000007C14: D86C0000 040000A5
	ds_read_b32 v5, v165 offset:64                             // 000000007C1C: D86C0040 050000A5
	ds_read_b32 v6, v165 offset:128                            // 000000007C24: D86C0080 060000A5
	ds_read_b32 v7, v165 offset:192                            // 000000007C2C: D86C00C0 070000A5
	ds_read_b32 v8, v165 offset:256                            // 000000007C34: D86C0100 080000A5
	ds_read_b32 v9, v165 offset:320                            // 000000007C3C: D86C0140 090000A5
	ds_read_b32 v10, v165 offset:384                           // 000000007C44: D86C0180 0A0000A5
	ds_read_b32 v11, v165 offset:448                           // 000000007C4C: D86C01C0 0B0000A5
	ds_read_b32 v12, v165 offset:512                           // 000000007C54: D86C0200 0C0000A5
	ds_read_b32 v13, v165 offset:576                           // 000000007C5C: D86C0240 0D0000A5
	ds_read_b32 v14, v165 offset:640                           // 000000007C64: D86C0280 0E0000A5
	ds_read_b32 v15, v165 offset:704                           // 000000007C6C: D86C02C0 0F0000A5
	ds_read_b32 v16, v165 offset:768                           // 000000007C74: D86C0300 100000A5
	ds_read_b32 v17, v165 offset:832                           // 000000007C7C: D86C0340 110000A5
	ds_read_b32 v18, v165 offset:896                           // 000000007C84: D86C0380 120000A5
	ds_read_b32 v19, v165 offset:960                           // 000000007C8C: D86C03C0 130000A5
	s_waitcnt lgkmcnt(0)                                       // 000000007C94: BF8CC07F
	s_barrier                                                  // 000000007C98: BF8A0000
	v_max3_f32 v157, |v4|, |v5|, v157                          // 000000007C9C: D1D3039D 06760B04
	v_max3_f32 v157, |v6|, |v7|, v157                          // 000000007CA4: D1D3039D 06760F06
	v_max3_f32 v157, |v8|, |v9|, v157                          // 000000007CAC: D1D3039D 06761308
	v_max3_f32 v157, |v10|, |v11|, v157                        // 000000007CB4: D1D3039D 0676170A
	v_max3_f32 v157, |v12|, |v13|, v157                        // 000000007CBC: D1D3039D 06761B0C
	v_max3_f32 v157, |v14|, |v15|, v157                        // 000000007CC4: D1D3039D 06761F0E
	v_max3_f32 v157, |v16|, |v17|, v157                        // 000000007CCC: D1D3039D 06762310
	v_max3_f32 v157, |v18|, |v19|, v157                        // 000000007CD4: D1D3039D 06762712
	v_rcp_f32_e32 v157, v157                                   // 000000007CDC: 7F3A459D
	v_mov_b32_e32 v4, 0x43700000                               // 000000007CE0: 7E0802FF 43700000
	v_mul_f32_e32 v157, v4, v157                               // 000000007CE8: 0B3B3B04
	v_mov_b32_e32 v4, v157                                     // 000000007CEC: 7E08039D
	v_mov_b32_e32 v5, v4                                       // 000000007CF0: 7E0A0304
	v_pk_mul_f32 v[88:89], v[4:5], v[88:89]                    // 000000007CF4: D3B14058 1802B104
	v_pk_mul_f32 v[90:91], v[4:5], v[90:91]                    // 000000007CFC: D3B1405A 1802B504
	v_cvt_pk_fp8_f32 v88, v88, v89                             // 000000007D04: D2A20058 0002B358
	v_cvt_pk_fp8_f32 v88, v90, v91 op_sel:[0,0,1]              // 000000007D0C: D2A24058 0002B75A
	v_pk_mul_f32 v[100:101], v[4:5], v[100:101]                // 000000007D14: D3B14064 1802C904
	v_pk_mul_f32 v[102:103], v[4:5], v[102:103]                // 000000007D1C: D3B14066 1802CD04
	v_cvt_pk_fp8_f32 v100, v100, v101                          // 000000007D24: D2A20064 0002CB64
	v_cvt_pk_fp8_f32 v100, v102, v103 op_sel:[0,0,1]           // 000000007D2C: D2A24064 0002CF66
	v_rcp_f32_e32 v157, v157                                   // 000000007D34: 7F3A459D
	v_mov_b32_e32 v160, 0x358637bd                             // 000000007D38: 7F4002FF 358637BD
	v_max3_f32 v160, |v112|, |v113|, v160                      // 000000007D40: D1D303A0 0682E370
	v_max3_f32 v160, |v114|, |v115|, v160                      // 000000007D48: D1D303A0 0682E772
	v_max3_f32 v160, |v124|, |v125|, v160                      // 000000007D50: D1D303A0 0682FB7C
	v_max3_f32 v160, |v126|, |v127|, v160                      // 000000007D58: D1D303A0 0682FF7E
	ds_write_b32 v164, v160                                    // 000000007D60: D81A0000 0000A0A4
	s_waitcnt lgkmcnt(0)                                       // 000000007D68: BF8CC07F
	s_barrier                                                  // 000000007D6C: BF8A0000
	ds_read_b32 v4, v165                                       // 000000007D70: D86C0000 040000A5
	ds_read_b32 v5, v165 offset:64                             // 000000007D78: D86C0040 050000A5
	ds_read_b32 v6, v165 offset:128                            // 000000007D80: D86C0080 060000A5
	ds_read_b32 v7, v165 offset:192                            // 000000007D88: D86C00C0 070000A5
	ds_read_b32 v8, v165 offset:256                            // 000000007D90: D86C0100 080000A5
	ds_read_b32 v9, v165 offset:320                            // 000000007D98: D86C0140 090000A5
	ds_read_b32 v10, v165 offset:384                           // 000000007DA0: D86C0180 0A0000A5
	ds_read_b32 v11, v165 offset:448                           // 000000007DA8: D86C01C0 0B0000A5
	ds_read_b32 v12, v165 offset:512                           // 000000007DB0: D86C0200 0C0000A5
	ds_read_b32 v13, v165 offset:576                           // 000000007DB8: D86C0240 0D0000A5
	ds_read_b32 v14, v165 offset:640                           // 000000007DC0: D86C0280 0E0000A5
	ds_read_b32 v15, v165 offset:704                           // 000000007DC8: D86C02C0 0F0000A5
	ds_read_b32 v16, v165 offset:768                           // 000000007DD0: D86C0300 100000A5
	ds_read_b32 v17, v165 offset:832                           // 000000007DD8: D86C0340 110000A5
	ds_read_b32 v18, v165 offset:896                           // 000000007DE0: D86C0380 120000A5
	ds_read_b32 v19, v165 offset:960                           // 000000007DE8: D86C03C0 130000A5
	s_waitcnt lgkmcnt(0)                                       // 000000007DF0: BF8CC07F
	s_barrier                                                  // 000000007DF4: BF8A0000
	v_max3_f32 v160, |v4|, |v5|, v160                          // 000000007DF8: D1D303A0 06820B04
	v_max3_f32 v160, |v6|, |v7|, v160                          // 000000007E00: D1D303A0 06820F06
	v_max3_f32 v160, |v8|, |v9|, v160                          // 000000007E08: D1D303A0 06821308
	v_max3_f32 v160, |v10|, |v11|, v160                        // 000000007E10: D1D303A0 0682170A
	v_max3_f32 v160, |v12|, |v13|, v160                        // 000000007E18: D1D303A0 06821B0C
	v_max3_f32 v160, |v14|, |v15|, v160                        // 000000007E20: D1D303A0 06821F0E
	v_max3_f32 v160, |v16|, |v17|, v160                        // 000000007E28: D1D303A0 06822310
	v_max3_f32 v160, |v18|, |v19|, v160                        // 000000007E30: D1D303A0 06822712
	v_rcp_f32_e32 v160, v160                                   // 000000007E38: 7F4045A0
	v_mov_b32_e32 v4, 0x43700000                               // 000000007E3C: 7E0802FF 43700000
	v_mul_f32_e32 v160, v4, v160                               // 000000007E44: 0B414104
	v_mov_b32_e32 v4, v160                                     // 000000007E48: 7E0803A0
	v_mov_b32_e32 v5, v4                                       // 000000007E4C: 7E0A0304
	v_pk_mul_f32 v[112:113], v[4:5], v[112:113]                // 000000007E50: D3B14070 1802E104
	v_pk_mul_f32 v[114:115], v[4:5], v[114:115]                // 000000007E58: D3B14072 1802E504
	v_cvt_pk_fp8_f32 v112, v112, v113                          // 000000007E60: D2A20070 0002E370
	v_cvt_pk_fp8_f32 v112, v114, v115 op_sel:[0,0,1]           // 000000007E68: D2A24070 0002E772
	v_pk_mul_f32 v[124:125], v[4:5], v[124:125]                // 000000007E70: D3B1407C 1802F904
	v_pk_mul_f32 v[126:127], v[4:5], v[126:127]                // 000000007E78: D3B1407E 1802FD04
	v_cvt_pk_fp8_f32 v124, v124, v125                          // 000000007E80: D2A2007C 0002FB7C
	v_cvt_pk_fp8_f32 v124, v126, v127 op_sel:[0,0,1]           // 000000007E88: D2A2407C 0002FF7E
	v_rcp_f32_e32 v160, v160                                   // 000000007E90: 7F4045A0
	v_mov_b32_e32 v163, 0x358637bd                             // 000000007E94: 7F4602FF 358637BD
	v_max3_f32 v163, |v136|, |v137|, v163                      // 000000007E9C: D1D303A3 068F1388
	v_max3_f32 v163, |v138|, |v139|, v163                      // 000000007EA4: D1D303A3 068F178A
	v_max3_f32 v163, |v148|, |v149|, v163                      // 000000007EAC: D1D303A3 068F2B94
	v_max3_f32 v163, |v150|, |v151|, v163                      // 000000007EB4: D1D303A3 068F2F96
	ds_write_b32 v164, v163                                    // 000000007EBC: D81A0000 0000A3A4
	s_waitcnt lgkmcnt(0)                                       // 000000007EC4: BF8CC07F
	s_barrier                                                  // 000000007EC8: BF8A0000
	ds_read_b32 v4, v165                                       // 000000007ECC: D86C0000 040000A5
	ds_read_b32 v5, v165 offset:64                             // 000000007ED4: D86C0040 050000A5
	ds_read_b32 v6, v165 offset:128                            // 000000007EDC: D86C0080 060000A5
	ds_read_b32 v7, v165 offset:192                            // 000000007EE4: D86C00C0 070000A5
	ds_read_b32 v8, v165 offset:256                            // 000000007EEC: D86C0100 080000A5
	ds_read_b32 v9, v165 offset:320                            // 000000007EF4: D86C0140 090000A5
	ds_read_b32 v10, v165 offset:384                           // 000000007EFC: D86C0180 0A0000A5
	ds_read_b32 v11, v165 offset:448                           // 000000007F04: D86C01C0 0B0000A5
	ds_read_b32 v12, v165 offset:512                           // 000000007F0C: D86C0200 0C0000A5
	ds_read_b32 v13, v165 offset:576                           // 000000007F14: D86C0240 0D0000A5
	ds_read_b32 v14, v165 offset:640                           // 000000007F1C: D86C0280 0E0000A5
	ds_read_b32 v15, v165 offset:704                           // 000000007F24: D86C02C0 0F0000A5
	ds_read_b32 v16, v165 offset:768                           // 000000007F2C: D86C0300 100000A5
	ds_read_b32 v17, v165 offset:832                           // 000000007F34: D86C0340 110000A5
	ds_read_b32 v18, v165 offset:896                           // 000000007F3C: D86C0380 120000A5
	ds_read_b32 v19, v165 offset:960                           // 000000007F44: D86C03C0 130000A5
	s_waitcnt lgkmcnt(0)                                       // 000000007F4C: BF8CC07F
	s_barrier                                                  // 000000007F50: BF8A0000
	v_max3_f32 v163, |v4|, |v5|, v163                          // 000000007F54: D1D303A3 068E0B04
	v_max3_f32 v163, |v6|, |v7|, v163                          // 000000007F5C: D1D303A3 068E0F06
	v_max3_f32 v163, |v8|, |v9|, v163                          // 000000007F64: D1D303A3 068E1308
	v_max3_f32 v163, |v10|, |v11|, v163                        // 000000007F6C: D1D303A3 068E170A
	v_max3_f32 v163, |v12|, |v13|, v163                        // 000000007F74: D1D303A3 068E1B0C
	v_max3_f32 v163, |v14|, |v15|, v163                        // 000000007F7C: D1D303A3 068E1F0E
	v_max3_f32 v163, |v16|, |v17|, v163                        // 000000007F84: D1D303A3 068E2310
	v_max3_f32 v163, |v18|, |v19|, v163                        // 000000007F8C: D1D303A3 068E2712
	v_rcp_f32_e32 v163, v163                                   // 000000007F94: 7F4645A3
	v_mov_b32_e32 v4, 0x43700000                               // 000000007F98: 7E0802FF 43700000
	v_mul_f32_e32 v163, v4, v163                               // 000000007FA0: 0B474704
	v_mov_b32_e32 v4, v163                                     // 000000007FA4: 7E0803A3
	v_mov_b32_e32 v5, v4                                       // 000000007FA8: 7E0A0304
	v_pk_mul_f32 v[136:137], v[4:5], v[136:137]                // 000000007FAC: D3B14088 18031104
	v_pk_mul_f32 v[138:139], v[4:5], v[138:139]                // 000000007FB4: D3B1408A 18031504
	v_cvt_pk_fp8_f32 v136, v136, v137                          // 000000007FBC: D2A20088 00031388
	v_cvt_pk_fp8_f32 v136, v138, v139 op_sel:[0,0,1]           // 000000007FC4: D2A24088 0003178A
	v_pk_mul_f32 v[148:149], v[4:5], v[148:149]                // 000000007FCC: D3B14094 18032904
	v_pk_mul_f32 v[150:151], v[4:5], v[150:151]                // 000000007FD4: D3B14096 18032D04
	v_cvt_pk_fp8_f32 v148, v148, v149                          // 000000007FDC: D2A20094 00032B94
	v_cvt_pk_fp8_f32 v148, v150, v151 op_sel:[0,0,1]           // 000000007FE4: D2A24094 00032F96
	v_rcp_f32_e32 v163, v163                                   // 000000007FEC: 7F4645A3
	v_lshrrev_b32_e32 v4, 5, v0                                // 000000007FF0: 20080085
	v_mul_lo_u32 v20, 34, v4                                   // 000000007FF4: D2850014 000208A2
	v_and_b32_e32 v4, 31, v0                                   // 000000007FFC: 2608009F
	v_lshrrev_b32_e32 v5, 4, v4                                // 000000008000: 200A0884
	v_add_u32_e32 v20, v5, v20                                 // 000000008004: 68282905
	v_and_b32_e32 v4, 15, v0                                   // 000000008008: 2608008F
	v_mul_lo_u32 v5, 2, v4                                     // 00000000800C: D2850005 00020882
	v_add_u32_e32 v20, v5, v20                                 // 000000008014: 68282905
	s_mul_i32 s60, s7, 0x44                                    // 000000008018: 923CFF07 00000044
	v_add_u32_e32 v20, s60, v20                                // 000000008020: 6828283C
	v_lshlrev_b32_e32 v20, 2, v20                              // 000000008024: 24282882
	ds_write_b32 v20, v56                                      // 000000008028: D81A0000 00003814
	ds_write_b32 v20, v60 offset:8704                          // 000000008030: D81A2200 00003C14
	ds_write_b32 v20, v64 offset:17408                         // 000000008038: D81A4400 00004014
	ds_write_b32 v20, v68 offset:1088                          // 000000008040: D81A0440 00004414
	ds_write_b32 v20, v72 offset:9792                          // 000000008048: D81A2640 00004814
	ds_write_b32 v20, v76 offset:18496                         // 000000008050: D81A4840 00004C14
	ds_write_b32 v20, v80 offset:2176                          // 000000008058: D81A0880 00005014
	ds_write_b32 v20, v84 offset:10880                         // 000000008060: D81A2A80 00005414
	ds_write_b32 v20, v88 offset:19584                         // 000000008068: D81A4C80 00005814
	ds_write_b32 v20, v92 offset:3264                          // 000000008070: D81A0CC0 00005C14
	ds_write_b32 v20, v96 offset:11968                         // 000000008078: D81A2EC0 00006014
	ds_write_b32 v20, v100 offset:20672                        // 000000008080: D81A50C0 00006414
	ds_write_b32 v20, v104 offset:4352                         // 000000008088: D81A1100 00006814
	ds_write_b32 v20, v108 offset:13056                        // 000000008090: D81A3300 00006C14
	ds_write_b32 v20, v112 offset:21760                        // 000000008098: D81A5500 00007014
	ds_write_b32 v20, v116 offset:5440                         // 0000000080A0: D81A1540 00007414
	ds_write_b32 v20, v120 offset:14144                        // 0000000080A8: D81A3740 00007814
	ds_write_b32 v20, v124 offset:22848                        // 0000000080B0: D81A5940 00007C14
	ds_write_b32 v20, v128 offset:6528                         // 0000000080B8: D81A1980 00008014
	ds_write_b32 v20, v132 offset:15232                        // 0000000080C0: D81A3B80 00008414
	ds_write_b32 v20, v136 offset:23936                        // 0000000080C8: D81A5D80 00008814
	ds_write_b32 v20, v140 offset:7616                         // 0000000080D0: D81A1DC0 00008C14
	ds_write_b32 v20, v144 offset:16320                        // 0000000080D8: D81A3FC0 00009014
	ds_write_b32 v20, v148 offset:25024                        // 0000000080E0: D81A61C0 00009414
	v_lshrrev_b32_e32 v4, 5, v0                                // 0000000080E8: 20080085
	v_xor_b32_e32 v5, 1, v4                                    // 0000000080EC: 2A0A0881
	s_mul_i32 s60, s65, 1                                      // 0000000080F0: 923C8141
	s_cmp_eq_u32 s88, 0                                        // 0000000080F4: BF068058
	s_cselect_b32 s61, 1, 8                                    // 0000000080F8: 853D8881
	s_mul_i32 s60, s61, s60                                    // 0000000080FC: 923C3C3D
	v_readlane_b32 s82, v3, 0                                  // 000000008100: D2890052 00010103
	s_lshr_b32 s61, s82, 24                                    // 000000008108: 8F3D9852
	s_and_b32 s82, s82, 0xffffff                               // 00000000810C: 8652FF52 00FFFFFF
	s_mul_i32 s82, s82, s71                                    // 000000008114: 92524752
	s_mul_i32 s61, s60, s61                                    // 000000008118: 923D3D3C
	s_add_u32 s82, s82, s61                                    // 00000000811C: 80523D52
	v_mul_lo_u32 v6, v5, s82                                   // 000000008120: D2850006 0000A505
	v_readlane_b32 s82, v3, 1                                  // 000000008128: D2890052 00010303
	s_lshr_b32 s61, s82, 24                                    // 000000008130: 8F3D9852
	s_and_b32 s82, s82, 0xffffff                               // 000000008134: 8652FF52 00FFFFFF
	s_mul_i32 s82, s82, s71                                    // 00000000813C: 92524752
	s_mul_i32 s61, s60, s61                                    // 000000008140: 923D3D3C
	s_add_u32 s82, s82, s61                                    // 000000008144: 80523D52
	v_mul_lo_u32 v7, v4, s82                                   // 000000008148: D2850007 0000A504
	v_add_u32_e32 v40, v6, v7                                  // 000000008150: 68500F06
	v_readlane_b32 s82, v3, 2                                  // 000000008154: D2890052 00010503
	s_lshr_b32 s61, s82, 24                                    // 00000000815C: 8F3D9852
	s_and_b32 s82, s82, 0xffffff                               // 000000008160: 8652FF52 00FFFFFF
	s_mul_i32 s82, s82, s71                                    // 000000008168: 92524752
	s_mul_i32 s61, s60, s61                                    // 00000000816C: 923D3D3C
	s_add_u32 s82, s82, s61                                    // 000000008170: 80523D52
	v_mul_lo_u32 v6, v5, s82                                   // 000000008174: D2850006 0000A505
	v_readlane_b32 s82, v3, 3                                  // 00000000817C: D2890052 00010703
	s_lshr_b32 s61, s82, 24                                    // 000000008184: 8F3D9852
	s_and_b32 s82, s82, 0xffffff                               // 000000008188: 8652FF52 00FFFFFF
	s_mul_i32 s82, s82, s71                                    // 000000008190: 92524752
	s_mul_i32 s61, s60, s61                                    // 000000008194: 923D3D3C
	s_add_u32 s82, s82, s61                                    // 000000008198: 80523D52
	v_mul_lo_u32 v7, v4, s82                                   // 00000000819C: D2850007 0000A504
	v_add_u32_e32 v41, v6, v7                                  // 0000000081A4: 68520F06
	v_readlane_b32 s82, v3, 4                                  // 0000000081A8: D2890052 00010903
	s_lshr_b32 s61, s82, 24                                    // 0000000081B0: 8F3D9852
	s_and_b32 s82, s82, 0xffffff                               // 0000000081B4: 8652FF52 00FFFFFF
	s_mul_i32 s82, s82, s71                                    // 0000000081BC: 92524752
	s_mul_i32 s61, s60, s61                                    // 0000000081C0: 923D3D3C
	s_add_u32 s82, s82, s61                                    // 0000000081C4: 80523D52
	v_mul_lo_u32 v6, v5, s82                                   // 0000000081C8: D2850006 0000A505
	v_readlane_b32 s82, v3, 5                                  // 0000000081D0: D2890052 00010B03
	s_lshr_b32 s61, s82, 24                                    // 0000000081D8: 8F3D9852
	s_and_b32 s82, s82, 0xffffff                               // 0000000081DC: 8652FF52 00FFFFFF
	s_mul_i32 s82, s82, s71                                    // 0000000081E4: 92524752
	s_mul_i32 s61, s60, s61                                    // 0000000081E8: 923D3D3C
	s_add_u32 s82, s82, s61                                    // 0000000081EC: 80523D52
	v_mul_lo_u32 v7, v4, s82                                   // 0000000081F0: D2850007 0000A504
	v_add_u32_e32 v42, v6, v7                                  // 0000000081F8: 68540F06
	v_readlane_b32 s82, v3, 6                                  // 0000000081FC: D2890052 00010D03
	s_lshr_b32 s61, s82, 24                                    // 000000008204: 8F3D9852
	s_and_b32 s82, s82, 0xffffff                               // 000000008208: 8652FF52 00FFFFFF
	s_mul_i32 s82, s82, s71                                    // 000000008210: 92524752
	s_mul_i32 s61, s60, s61                                    // 000000008214: 923D3D3C
	s_add_u32 s82, s82, s61                                    // 000000008218: 80523D52
	v_mul_lo_u32 v6, v5, s82                                   // 00000000821C: D2850006 0000A505
	v_readlane_b32 s82, v3, 7                                  // 000000008224: D2890052 00010F03
	s_lshr_b32 s61, s82, 24                                    // 00000000822C: 8F3D9852
	s_and_b32 s82, s82, 0xffffff                               // 000000008230: 8652FF52 00FFFFFF
	s_mul_i32 s82, s82, s71                                    // 000000008238: 92524752
	s_mul_i32 s61, s60, s61                                    // 00000000823C: 923D3D3C
	s_add_u32 s82, s82, s61                                    // 000000008240: 80523D52
	v_mul_lo_u32 v7, v4, s82                                   // 000000008244: D2850007 0000A504
	v_add_u32_e32 v43, v6, v7                                  // 00000000824C: 68560F06
	v_readlane_b32 s82, v3, 8                                  // 000000008250: D2890052 00011103
	s_lshr_b32 s61, s82, 24                                    // 000000008258: 8F3D9852
	s_and_b32 s82, s82, 0xffffff                               // 00000000825C: 8652FF52 00FFFFFF
	s_mul_i32 s82, s82, s71                                    // 000000008264: 92524752
	s_mul_i32 s61, s60, s61                                    // 000000008268: 923D3D3C
	s_add_u32 s82, s82, s61                                    // 00000000826C: 80523D52
	v_mul_lo_u32 v6, v5, s82                                   // 000000008270: D2850006 0000A505
	v_readlane_b32 s82, v3, 9                                  // 000000008278: D2890052 00011303
	s_lshr_b32 s61, s82, 24                                    // 000000008280: 8F3D9852
	s_and_b32 s82, s82, 0xffffff                               // 000000008284: 8652FF52 00FFFFFF
	s_mul_i32 s82, s82, s71                                    // 00000000828C: 92524752
	s_mul_i32 s61, s60, s61                                    // 000000008290: 923D3D3C
	s_add_u32 s82, s82, s61                                    // 000000008294: 80523D52
	v_mul_lo_u32 v7, v4, s82                                   // 000000008298: D2850007 0000A504
	v_add_u32_e32 v44, v6, v7                                  // 0000000082A0: 68580F06
	v_readlane_b32 s82, v3, 10                                 // 0000000082A4: D2890052 00011503
	s_lshr_b32 s61, s82, 24                                    // 0000000082AC: 8F3D9852
	s_and_b32 s82, s82, 0xffffff                               // 0000000082B0: 8652FF52 00FFFFFF
	s_mul_i32 s82, s82, s71                                    // 0000000082B8: 92524752
	s_mul_i32 s61, s60, s61                                    // 0000000082BC: 923D3D3C
	s_add_u32 s82, s82, s61                                    // 0000000082C0: 80523D52
	v_mul_lo_u32 v6, v5, s82                                   // 0000000082C4: D2850006 0000A505
	v_readlane_b32 s82, v3, 11                                 // 0000000082CC: D2890052 00011703
	s_lshr_b32 s61, s82, 24                                    // 0000000082D4: 8F3D9852
	s_and_b32 s82, s82, 0xffffff                               // 0000000082D8: 8652FF52 00FFFFFF
	s_mul_i32 s82, s82, s71                                    // 0000000082E0: 92524752
	s_mul_i32 s61, s60, s61                                    // 0000000082E4: 923D3D3C
	s_add_u32 s82, s82, s61                                    // 0000000082E8: 80523D52
	v_mul_lo_u32 v7, v4, s82                                   // 0000000082EC: D2850007 0000A504
	v_add_u32_e32 v45, v6, v7                                  // 0000000082F4: 685A0F06
	v_and_b32_e32 v4, 31, v0                                   // 0000000082F8: 2608009F
	v_lshrrev_b32_e32 v4, 1, v4                                // 0000000082FC: 20080881
	s_cmp_eq_u32 s88, 0                                        // 000000008300: BF068058
	s_cselect_b32 s61, 2, 4                                    // 000000008304: 853D8482
	v_mul_lo_u32 v4, v4, s61                                   // 000000008308: D2850004 00007B04
	v_and_b32_e64 v5, v0, 1                                    // 000000008310: D1130005 00010300
	v_add_u32_e32 v4, v4, v5                                   // 000000008318: 68080B04
	v_lshlrev_b32_e32 v4, 2, v4                                // 00000000831C: 24080882
	v_add_u32_e32 v40, v40, v4                                 // 000000008320: 68500928
	v_add_u32_e32 v41, v41, v4                                 // 000000008324: 68520929
	v_add_u32_e32 v42, v42, v4                                 // 000000008328: 6854092A
	v_add_u32_e32 v43, v43, v4                                 // 00000000832C: 6856092B
	v_add_u32_e32 v44, v44, v4                                 // 000000008330: 6858092C
	v_add_u32_e32 v45, v45, v4                                 // 000000008334: 685A092D
	s_waitcnt lgkmcnt(0)                                       // 000000008338: BF8CC07F
	s_barrier                                                  // 00000000833C: BF8A0000
	ds_read_b32 v56, v21                                       // 000000008340: D86C0000 38000015
	ds_read_b32 v57, v21 offset:64                             // 000000008348: D86C0040 39000015
	ds_read_b32 v58, v21 offset:2176                           // 000000008350: D86C0880 3A000015
	ds_read_b32 v59, v21 offset:2240                           // 000000008358: D86C08C0 3B000015
	ds_read_b32 v60, v21 offset:4352                           // 000000008360: D86C1100 3C000015
	ds_read_b32 v61, v21 offset:4416                           // 000000008368: D86C1140 3D000015
	ds_read_b32 v62, v21 offset:6528                           // 000000008370: D86C1980 3E000015
	ds_read_b32 v63, v21 offset:6592                           // 000000008378: D86C19C0 3F000015
	ds_read_b32 v64, v21 offset:8704                           // 000000008380: D86C2200 40000015
	ds_read_b32 v65, v21 offset:8768                           // 000000008388: D86C2240 41000015
	ds_read_b32 v66, v21 offset:10880                          // 000000008390: D86C2A80 42000015
	ds_read_b32 v67, v21 offset:10944                          // 000000008398: D86C2AC0 43000015
	ds_read_b32 v68, v21 offset:13056                          // 0000000083A0: D86C3300 44000015
	ds_read_b32 v69, v21 offset:13120                          // 0000000083A8: D86C3340 45000015
	ds_read_b32 v70, v21 offset:15232                          // 0000000083B0: D86C3B80 46000015
	ds_read_b32 v71, v21 offset:15296                          // 0000000083B8: D86C3BC0 47000015
	ds_read_b32 v72, v21 offset:17408                          // 0000000083C0: D86C4400 48000015
	ds_read_b32 v73, v21 offset:17472                          // 0000000083C8: D86C4440 49000015
	ds_read_b32 v74, v21 offset:19584                          // 0000000083D0: D86C4C80 4A000015
	ds_read_b32 v75, v21 offset:19648                          // 0000000083D8: D86C4CC0 4B000015
	ds_read_b32 v76, v21 offset:21760                          // 0000000083E0: D86C5500 4C000015
	ds_read_b32 v77, v21 offset:21824                          // 0000000083E8: D86C5540 4D000015
	ds_read_b32 v78, v21 offset:23936                          // 0000000083F0: D86C5D80 4E000015
	ds_read_b32 v79, v21 offset:24000                          // 0000000083F8: D86C5DC0 4F000015
	s_waitcnt lgkmcnt(0)                                       // 000000008400: BF8CC07F
	s_mov_b32 s36, -1                                          // 000000008404: BEA400C1
	s_mov_b32 s37, -1                                          // 000000008408: BEA500C1
	v_mov_b32_e32 v7, 0                                        // 00000000840C: 7E0E0280
	s_or_b32 s9, s9, 0x40000                                   // 000000008410: 8709FF09 00040000
	s_mov_b64 exec, s[36:37]                                   // 000000008418: BEFE0124
	v_mov_b32_e32 v6, v40                                      // 00000000841C: 7E0C0328
	s_mov_b64 s[60:61], 0                                      // 000000008420: BEBC0180
	v_readlane_b32 s82, v3, 0                                  // 000000008424: D2890052 00010103
	s_and_b32 s82, s82, 0xffffff                               // 00000000842C: 8652FF52 00FFFFFF
	s_cmp_lt_u32 s82, s66                                      // 000000008434: BF0A4252
	s_cselect_b32 s20, s36, s60                                // 000000008438: 85143C24
	v_readlane_b32 s82, v3, 1                                  // 00000000843C: D2890052 00010303
	s_and_b32 s82, s82, 0xffffff                               // 000000008444: 8652FF52 00FFFFFF
	s_cmp_lt_u32 s82, s66                                      // 00000000844C: BF0A4252
	s_cselect_b32 s21, s36, s60                                // 000000008450: 85153C24
	s_mov_b64 exec, s[20:21]                                   // 000000008454: BEFE0114
	buffer_store_dword v56, v6, s[8:11], 0 offen               // 000000008458: E0701000 80023806
	buffer_store_dword v58, v6, s[8:11], 0 offen offset:128    // 000000008460: E0701080 80023A06
	buffer_store_dword v60, v6, s[8:11], 0 offen offset:256    // 000000008468: E0701100 80023C06
	buffer_store_dword v62, v6, s[8:11], 0 offen offset:384    // 000000008470: E0701180 80023E06
	s_mov_b64 exec, s[36:37]                                   // 000000008478: BEFE0124
	v_mov_b32_e32 v6, v41                                      // 00000000847C: 7E0C0329
	s_mov_b64 s[60:61], 0                                      // 000000008480: BEBC0180
	v_readlane_b32 s82, v3, 2                                  // 000000008484: D2890052 00010503
	s_and_b32 s82, s82, 0xffffff                               // 00000000848C: 8652FF52 00FFFFFF
	s_cmp_lt_u32 s82, s66                                      // 000000008494: BF0A4252
	s_cselect_b32 s20, s36, s60                                // 000000008498: 85143C24
	v_readlane_b32 s82, v3, 3                                  // 00000000849C: D2890052 00010703
	s_and_b32 s82, s82, 0xffffff                               // 0000000084A4: 8652FF52 00FFFFFF
	s_cmp_lt_u32 s82, s66                                      // 0000000084AC: BF0A4252
	s_cselect_b32 s21, s36, s60                                // 0000000084B0: 85153C24
	s_mov_b64 exec, s[20:21]                                   // 0000000084B4: BEFE0114
	buffer_store_dword v57, v6, s[8:11], 0 offen               // 0000000084B8: E0701000 80023906
	buffer_store_dword v59, v6, s[8:11], 0 offen offset:128    // 0000000084C0: E0701080 80023B06
	buffer_store_dword v61, v6, s[8:11], 0 offen offset:256    // 0000000084C8: E0701100 80023D06
	buffer_store_dword v63, v6, s[8:11], 0 offen offset:384    // 0000000084D0: E0701180 80023F06
	s_mov_b64 exec, s[36:37]                                   // 0000000084D8: BEFE0124
	v_mov_b32_e32 v6, v42                                      // 0000000084DC: 7E0C032A
	s_mov_b64 s[60:61], 0                                      // 0000000084E0: BEBC0180
	v_readlane_b32 s82, v3, 4                                  // 0000000084E4: D2890052 00010903
	s_and_b32 s82, s82, 0xffffff                               // 0000000084EC: 8652FF52 00FFFFFF
	s_cmp_lt_u32 s82, s66                                      // 0000000084F4: BF0A4252
	s_cselect_b32 s20, s36, s60                                // 0000000084F8: 85143C24
	v_readlane_b32 s82, v3, 5                                  // 0000000084FC: D2890052 00010B03
	s_and_b32 s82, s82, 0xffffff                               // 000000008504: 8652FF52 00FFFFFF
	s_cmp_lt_u32 s82, s66                                      // 00000000850C: BF0A4252
	s_cselect_b32 s21, s36, s60                                // 000000008510: 85153C24
	s_mov_b64 exec, s[20:21]                                   // 000000008514: BEFE0114
	buffer_store_dword v64, v6, s[8:11], 0 offen               // 000000008518: E0701000 80024006
	buffer_store_dword v66, v6, s[8:11], 0 offen offset:128    // 000000008520: E0701080 80024206
	buffer_store_dword v68, v6, s[8:11], 0 offen offset:256    // 000000008528: E0701100 80024406
	buffer_store_dword v70, v6, s[8:11], 0 offen offset:384    // 000000008530: E0701180 80024606
	s_mov_b64 exec, s[36:37]                                   // 000000008538: BEFE0124
	v_mov_b32_e32 v6, v43                                      // 00000000853C: 7E0C032B
	s_mov_b64 s[60:61], 0                                      // 000000008540: BEBC0180
	v_readlane_b32 s82, v3, 6                                  // 000000008544: D2890052 00010D03
	s_and_b32 s82, s82, 0xffffff                               // 00000000854C: 8652FF52 00FFFFFF
	s_cmp_lt_u32 s82, s66                                      // 000000008554: BF0A4252
	s_cselect_b32 s20, s36, s60                                // 000000008558: 85143C24
	v_readlane_b32 s82, v3, 7                                  // 00000000855C: D2890052 00010F03
	s_and_b32 s82, s82, 0xffffff                               // 000000008564: 8652FF52 00FFFFFF
	s_cmp_lt_u32 s82, s66                                      // 00000000856C: BF0A4252
	s_cselect_b32 s21, s36, s60                                // 000000008570: 85153C24
	s_mov_b64 exec, s[20:21]                                   // 000000008574: BEFE0114
	buffer_store_dword v65, v6, s[8:11], 0 offen               // 000000008578: E0701000 80024106
	buffer_store_dword v67, v6, s[8:11], 0 offen offset:128    // 000000008580: E0701080 80024306
	buffer_store_dword v69, v6, s[8:11], 0 offen offset:256    // 000000008588: E0701100 80024506
	buffer_store_dword v71, v6, s[8:11], 0 offen offset:384    // 000000008590: E0701180 80024706
	s_mov_b64 exec, s[36:37]                                   // 000000008598: BEFE0124
	v_mov_b32_e32 v6, v44                                      // 00000000859C: 7E0C032C
	s_mov_b64 s[60:61], 0                                      // 0000000085A0: BEBC0180
	v_readlane_b32 s82, v3, 8                                  // 0000000085A4: D2890052 00011103
	s_and_b32 s82, s82, 0xffffff                               // 0000000085AC: 8652FF52 00FFFFFF
	s_cmp_lt_u32 s82, s66                                      // 0000000085B4: BF0A4252
	s_cselect_b32 s20, s36, s60                                // 0000000085B8: 85143C24
	v_readlane_b32 s82, v3, 9                                  // 0000000085BC: D2890052 00011303
	s_and_b32 s82, s82, 0xffffff                               // 0000000085C4: 8652FF52 00FFFFFF
	s_cmp_lt_u32 s82, s66                                      // 0000000085CC: BF0A4252
	s_cselect_b32 s21, s36, s60                                // 0000000085D0: 85153C24
	s_mov_b64 exec, s[20:21]                                   // 0000000085D4: BEFE0114
	buffer_store_dword v72, v6, s[8:11], 0 offen               // 0000000085D8: E0701000 80024806
	buffer_store_dword v74, v6, s[8:11], 0 offen offset:128    // 0000000085E0: E0701080 80024A06
	buffer_store_dword v76, v6, s[8:11], 0 offen offset:256    // 0000000085E8: E0701100 80024C06
	buffer_store_dword v78, v6, s[8:11], 0 offen offset:384    // 0000000085F0: E0701180 80024E06
	s_mov_b64 exec, s[36:37]                                   // 0000000085F8: BEFE0124
	v_mov_b32_e32 v6, v45                                      // 0000000085FC: 7E0C032D
	s_mov_b64 s[60:61], 0                                      // 000000008600: BEBC0180
	v_readlane_b32 s82, v3, 10                                 // 000000008604: D2890052 00011503
	s_and_b32 s82, s82, 0xffffff                               // 00000000860C: 8652FF52 00FFFFFF
	s_cmp_lt_u32 s82, s66                                      // 000000008614: BF0A4252
	s_cselect_b32 s20, s36, s60                                // 000000008618: 85143C24
	v_readlane_b32 s82, v3, 11                                 // 00000000861C: D2890052 00011703
	s_and_b32 s82, s82, 0xffffff                               // 000000008624: 8652FF52 00FFFFFF
	s_cmp_lt_u32 s82, s66                                      // 00000000862C: BF0A4252
	s_cselect_b32 s21, s36, s60                                // 000000008630: 85153C24
	s_mov_b64 exec, s[20:21]                                   // 000000008634: BEFE0114
	buffer_store_dword v73, v6, s[8:11], 0 offen               // 000000008638: E0701000 80024906
	buffer_store_dword v75, v6, s[8:11], 0 offen offset:128    // 000000008640: E0701080 80024B06
	buffer_store_dword v77, v6, s[8:11], 0 offen offset:256    // 000000008648: E0701100 80024D06
	buffer_store_dword v79, v6, s[8:11], 0 offen offset:384    // 000000008650: E0701180 80024F06
	s_mov_b64 exec, s[36:37]                                   // 000000008658: BEFE0124
	s_cmp_eq_u32 s7, 0                                         // 00000000865C: BF068007
	s_cbranch_scc0 label_37C6                                  // 000000008660: BF8420AA
	s_waitcnt vmcnt(24)                                        // 000000008664: BF8C4F78
	s_mov_b32 s8, s90                                          // 000000008668: BE88005A
	s_mov_b32 s9, s91                                          // 00000000866C: BE89005B
	s_mul_i32 s60, s66, s71                                    // 000000008670: 923C4742
	s_add_u32 s8, s60, s8                                      // 000000008674: 8008083C
	s_addc_u32 s9, 0, s9                                       // 000000008678: 82090980
	s_lshr_b32 s71, s71, 5                                     // 00000000867C: 8F478547
	s_mul_i32 s60, s66, s71                                    // 000000008680: 923C4742
	s_mov_b32 s10, s60                                         // 000000008684: BE8A003C
	s_lshr_b32 s61, s65, 5                                     // 000000008688: 8F3D8541
	s_mul_i32 s60, s2, 16                                      // 00000000868C: 923C9002
	v_lshrrev_b32_e32 v4, 24, v28                              // 000000008690: 20083898
	v_mul_lo_u32 v4, s61, v4                                   // 000000008694: D2850004 0002083D
	v_and_b32_e32 v28, 0xffffff, v28                           // 00000000869C: 263838FF 00FFFFFF
	v_mul_lo_u32 v28, s71, v28                                 // 0000000086A4: D285001C 00023847
	v_add_u32_e32 v28, v4, v28                                 // 0000000086AC: 68383904
	v_add_u32_e32 v28, s60, v28                                // 0000000086B0: 6838383C
	v_lshrrev_b32_e32 v4, 24, v29                              // 0000000086B4: 20083A98
	v_mul_lo_u32 v4, s61, v4                                   // 0000000086B8: D2850004 0002083D
	v_and_b32_e32 v29, 0xffffff, v29                           // 0000000086C0: 263A3AFF 00FFFFFF
	v_mul_lo_u32 v29, s71, v29                                 // 0000000086C8: D285001D 00023A47
	v_add_u32_e32 v29, v4, v29                                 // 0000000086D0: 683A3B04
	v_add_u32_e32 v29, s60, v29                                // 0000000086D4: 683A3A3C
	v_lshrrev_b32_e32 v4, 24, v30                              // 0000000086D8: 20083C98
	v_mul_lo_u32 v4, s61, v4                                   // 0000000086DC: D2850004 0002083D
	v_and_b32_e32 v30, 0xffffff, v30                           // 0000000086E4: 263C3CFF 00FFFFFF
	v_mul_lo_u32 v30, s71, v30                                 // 0000000086EC: D285001E 00023C47
	v_add_u32_e32 v30, v4, v30                                 // 0000000086F4: 683C3D04
	v_add_u32_e32 v30, s60, v30                                // 0000000086F8: 683C3C3C
	s_mov_b64 exec, 0xffff                                     // 0000000086FC: BEFE01FF 0000FFFF
	buffer_store_dword v152, v28, s[8:11], 0 offen             // 000000008704: E0701000 8002981C
	buffer_store_dword v155, v28, s[8:11], 0 offen offset:4    // 00000000870C: E0701004 80029B1C
	buffer_store_dword v158, v28, s[8:11], 0 offen offset:8    // 000000008714: E0701008 80029E1C
	buffer_store_dword v161, v28, s[8:11], 0 offen offset:12   // 00000000871C: E070100C 8002A11C
	buffer_store_dword v153, v29, s[8:11], 0 offen             // 000000008724: E0701000 8002991D
	buffer_store_dword v156, v29, s[8:11], 0 offen offset:4    // 00000000872C: E0701004 80029C1D
	buffer_store_dword v159, v29, s[8:11], 0 offen offset:8    // 000000008734: E0701008 80029F1D
	buffer_store_dword v162, v29, s[8:11], 0 offen offset:12   // 00000000873C: E070100C 8002A21D
	buffer_store_dword v154, v30, s[8:11], 0 offen             // 000000008744: E0701000 80029A1E
	buffer_store_dword v157, v30, s[8:11], 0 offen offset:4    // 00000000874C: E0701004 80029D1E
	buffer_store_dword v160, v30, s[8:11], 0 offen offset:8    // 000000008754: E0701008 8002A01E
	buffer_store_dword v163, v30, s[8:11], 0 offen offset:12   // 00000000875C: E070100C 8002A31E
	s_mov_b64 exec, s[36:37]                                   // 000000008764: BEFE0124
	s_branch label_37C6                                        // 000000008768: BF822068

000000000000876c <label_175B>:
	ds_write_b64 v20, v[56:57]                                 // 00000000876C: D89A0000 00003814
	ds_write_b64 v20, v[60:61] offset:17408                    // 000000008774: D89A4400 00003C14
	ds_write_b64 v20, v[64:65] offset:34816                    // 00000000877C: D89A8800 00004014
	ds_write_b64 v20, v[68:69] offset:2176                     // 000000008784: D89A0880 00004414
	ds_write_b64 v20, v[72:73] offset:19584                    // 00000000878C: D89A4C80 00004814
	ds_write_b64 v20, v[76:77] offset:36992                    // 000000008794: D89A9080 00004C14
	ds_write_b64 v20, v[80:81] offset:4352                     // 00000000879C: D89A1100 00005014
	ds_write_b64 v20, v[84:85] offset:21760                    // 0000000087A4: D89A5500 00005414
	ds_write_b64 v20, v[88:89] offset:39168                    // 0000000087AC: D89A9900 00005814
	ds_write_b64 v20, v[92:93] offset:6528                     // 0000000087B4: D89A1980 00005C14
	ds_write_b64 v20, v[96:97] offset:23936                    // 0000000087BC: D89A5D80 00006014
	ds_write_b64 v20, v[100:101] offset:41344                  // 0000000087C4: D89AA180 00006414
	ds_write_b64 v20, v[104:105] offset:8704                   // 0000000087CC: D89A2200 00006814
	ds_write_b64 v20, v[108:109] offset:26112                  // 0000000087D4: D89A6600 00006C14
	ds_write_b64 v20, v[112:113] offset:43520                  // 0000000087DC: D89AAA00 00007014
	ds_write_b64 v20, v[116:117] offset:10880                  // 0000000087E4: D89A2A80 00007414
	ds_write_b64 v20, v[120:121] offset:28288                  // 0000000087EC: D89A6E80 00007814
	ds_write_b64 v20, v[124:125] offset:45696                  // 0000000087F4: D89AB280 00007C14
	ds_write_b64 v20, v[128:129] offset:13056                  // 0000000087FC: D89A3300 00008014
	ds_write_b64 v20, v[132:133] offset:30464                  // 000000008804: D89A7700 00008414
	ds_write_b64 v20, v[136:137] offset:47872                  // 00000000880C: D89ABB00 00008814
	ds_write_b64 v20, v[140:141] offset:15232                  // 000000008814: D89A3B80 00008C14
	ds_write_b64 v20, v[144:145] offset:32640                  // 00000000881C: D89A7F80 00009014
	ds_write_b64 v20, v[148:149] offset:50048                  // 000000008824: D89AC380 00009414
	v_lshrrev_b32_e32 v4, 5, v0                                // 00000000882C: 20080085
	v_xor_b32_e32 v5, 1, v4                                    // 000000008830: 2A0A0881
	s_mul_i32 s60, s65, 1                                      // 000000008834: 923C8141
	s_cmp_eq_u32 s88, 0                                        // 000000008838: BF068058
	s_cselect_b32 s61, 1, 8                                    // 00000000883C: 853D8881
	s_mul_i32 s60, s61, s60                                    // 000000008840: 923C3C3D
	v_readlane_b32 s82, v3, 0                                  // 000000008844: D2890052 00010103
	s_lshr_b32 s61, s82, 24                                    // 00000000884C: 8F3D9852
	s_and_b32 s82, s82, 0xffffff                               // 000000008850: 8652FF52 00FFFFFF
	s_mul_i32 s82, s82, s71                                    // 000000008858: 92524752
	s_mul_i32 s61, s60, s61                                    // 00000000885C: 923D3D3C
	s_add_u32 s82, s82, s61                                    // 000000008860: 80523D52
	v_mul_lo_u32 v6, v5, s82                                   // 000000008864: D2850006 0000A505
	v_readlane_b32 s82, v3, 1                                  // 00000000886C: D2890052 00010303
	s_lshr_b32 s61, s82, 24                                    // 000000008874: 8F3D9852
	s_and_b32 s82, s82, 0xffffff                               // 000000008878: 8652FF52 00FFFFFF
	s_mul_i32 s82, s82, s71                                    // 000000008880: 92524752
	s_mul_i32 s61, s60, s61                                    // 000000008884: 923D3D3C
	s_add_u32 s82, s82, s61                                    // 000000008888: 80523D52
	v_mul_lo_u32 v7, v4, s82                                   // 00000000888C: D2850007 0000A504
	v_add_u32_e32 v40, v6, v7                                  // 000000008894: 68500F06
	v_readlane_b32 s82, v3, 2                                  // 000000008898: D2890052 00010503
	s_lshr_b32 s61, s82, 24                                    // 0000000088A0: 8F3D9852
	s_and_b32 s82, s82, 0xffffff                               // 0000000088A4: 8652FF52 00FFFFFF
	s_mul_i32 s82, s82, s71                                    // 0000000088AC: 92524752
	s_mul_i32 s61, s60, s61                                    // 0000000088B0: 923D3D3C
	s_add_u32 s82, s82, s61                                    // 0000000088B4: 80523D52
	v_mul_lo_u32 v6, v5, s82                                   // 0000000088B8: D2850006 0000A505
	v_readlane_b32 s82, v3, 3                                  // 0000000088C0: D2890052 00010703
	s_lshr_b32 s61, s82, 24                                    // 0000000088C8: 8F3D9852
	s_and_b32 s82, s82, 0xffffff                               // 0000000088CC: 8652FF52 00FFFFFF
	s_mul_i32 s82, s82, s71                                    // 0000000088D4: 92524752
	s_mul_i32 s61, s60, s61                                    // 0000000088D8: 923D3D3C
	s_add_u32 s82, s82, s61                                    // 0000000088DC: 80523D52
	v_mul_lo_u32 v7, v4, s82                                   // 0000000088E0: D2850007 0000A504
	v_add_u32_e32 v41, v6, v7                                  // 0000000088E8: 68520F06
	v_readlane_b32 s82, v3, 4                                  // 0000000088EC: D2890052 00010903
	s_lshr_b32 s61, s82, 24                                    // 0000000088F4: 8F3D9852
	s_and_b32 s82, s82, 0xffffff                               // 0000000088F8: 8652FF52 00FFFFFF
	s_mul_i32 s82, s82, s71                                    // 000000008900: 92524752
	s_mul_i32 s61, s60, s61                                    // 000000008904: 923D3D3C
	s_add_u32 s82, s82, s61                                    // 000000008908: 80523D52
	v_mul_lo_u32 v6, v5, s82                                   // 00000000890C: D2850006 0000A505
	v_readlane_b32 s82, v3, 5                                  // 000000008914: D2890052 00010B03
	s_lshr_b32 s61, s82, 24                                    // 00000000891C: 8F3D9852
	s_and_b32 s82, s82, 0xffffff                               // 000000008920: 8652FF52 00FFFFFF
	s_mul_i32 s82, s82, s71                                    // 000000008928: 92524752
	s_mul_i32 s61, s60, s61                                    // 00000000892C: 923D3D3C
	s_add_u32 s82, s82, s61                                    // 000000008930: 80523D52
	v_mul_lo_u32 v7, v4, s82                                   // 000000008934: D2850007 0000A504
	v_add_u32_e32 v42, v6, v7                                  // 00000000893C: 68540F06
	v_readlane_b32 s82, v3, 6                                  // 000000008940: D2890052 00010D03
	s_lshr_b32 s61, s82, 24                                    // 000000008948: 8F3D9852
	s_and_b32 s82, s82, 0xffffff                               // 00000000894C: 8652FF52 00FFFFFF
	s_mul_i32 s82, s82, s71                                    // 000000008954: 92524752
	s_mul_i32 s61, s60, s61                                    // 000000008958: 923D3D3C
	s_add_u32 s82, s82, s61                                    // 00000000895C: 80523D52
	v_mul_lo_u32 v6, v5, s82                                   // 000000008960: D2850006 0000A505
	v_readlane_b32 s82, v3, 7                                  // 000000008968: D2890052 00010F03
	s_lshr_b32 s61, s82, 24                                    // 000000008970: 8F3D9852
	s_and_b32 s82, s82, 0xffffff                               // 000000008974: 8652FF52 00FFFFFF
	s_mul_i32 s82, s82, s71                                    // 00000000897C: 92524752
	s_mul_i32 s61, s60, s61                                    // 000000008980: 923D3D3C
	s_add_u32 s82, s82, s61                                    // 000000008984: 80523D52
	v_mul_lo_u32 v7, v4, s82                                   // 000000008988: D2850007 0000A504
	v_add_u32_e32 v43, v6, v7                                  // 000000008990: 68560F06
	v_readlane_b32 s82, v3, 8                                  // 000000008994: D2890052 00011103
	s_lshr_b32 s61, s82, 24                                    // 00000000899C: 8F3D9852
	s_and_b32 s82, s82, 0xffffff                               // 0000000089A0: 8652FF52 00FFFFFF
	s_mul_i32 s82, s82, s71                                    // 0000000089A8: 92524752
	s_mul_i32 s61, s60, s61                                    // 0000000089AC: 923D3D3C
	s_add_u32 s82, s82, s61                                    // 0000000089B0: 80523D52
	v_mul_lo_u32 v6, v5, s82                                   // 0000000089B4: D2850006 0000A505
	v_readlane_b32 s82, v3, 9                                  // 0000000089BC: D2890052 00011303
	s_lshr_b32 s61, s82, 24                                    // 0000000089C4: 8F3D9852
	s_and_b32 s82, s82, 0xffffff                               // 0000000089C8: 8652FF52 00FFFFFF
	s_mul_i32 s82, s82, s71                                    // 0000000089D0: 92524752
	s_mul_i32 s61, s60, s61                                    // 0000000089D4: 923D3D3C
	s_add_u32 s82, s82, s61                                    // 0000000089D8: 80523D52
	v_mul_lo_u32 v7, v4, s82                                   // 0000000089DC: D2850007 0000A504
	v_add_u32_e32 v44, v6, v7                                  // 0000000089E4: 68580F06
	v_readlane_b32 s82, v3, 10                                 // 0000000089E8: D2890052 00011503
	s_lshr_b32 s61, s82, 24                                    // 0000000089F0: 8F3D9852
	s_and_b32 s82, s82, 0xffffff                               // 0000000089F4: 8652FF52 00FFFFFF
	s_mul_i32 s82, s82, s71                                    // 0000000089FC: 92524752
	s_mul_i32 s61, s60, s61                                    // 000000008A00: 923D3D3C
	s_add_u32 s82, s82, s61                                    // 000000008A04: 80523D52
	v_mul_lo_u32 v6, v5, s82                                   // 000000008A08: D2850006 0000A505
	v_readlane_b32 s82, v3, 11                                 // 000000008A10: D2890052 00011703
	s_lshr_b32 s61, s82, 24                                    // 000000008A18: 8F3D9852
	s_and_b32 s82, s82, 0xffffff                               // 000000008A1C: 8652FF52 00FFFFFF
	s_mul_i32 s82, s82, s71                                    // 000000008A24: 92524752
	s_mul_i32 s61, s60, s61                                    // 000000008A28: 923D3D3C
	s_add_u32 s82, s82, s61                                    // 000000008A2C: 80523D52
	v_mul_lo_u32 v7, v4, s82                                   // 000000008A30: D2850007 0000A504
	v_add_u32_e32 v45, v6, v7                                  // 000000008A38: 685A0F06
	v_and_b32_e32 v4, 31, v0                                   // 000000008A3C: 2608009F
	v_lshrrev_b32_e32 v4, 1, v4                                // 000000008A40: 20080881
	s_cmp_eq_u32 s88, 0                                        // 000000008A44: BF068058
	s_cselect_b32 s61, 2, 4                                    // 000000008A48: 853D8482
	v_mul_lo_u32 v4, v4, s61                                   // 000000008A4C: D2850004 00007B04
	v_and_b32_e64 v5, v0, 1                                    // 000000008A54: D1130005 00010300
	v_add_u32_e32 v4, v4, v5                                   // 000000008A5C: 68080B04
	v_lshlrev_b32_e32 v4, 2, v4                                // 000000008A60: 24080882
	v_add_u32_e32 v40, v40, v4                                 // 000000008A64: 68500928
	v_add_u32_e32 v41, v41, v4                                 // 000000008A68: 68520929
	v_add_u32_e32 v42, v42, v4                                 // 000000008A6C: 6854092A
	v_add_u32_e32 v43, v43, v4                                 // 000000008A70: 6856092B
	v_add_u32_e32 v44, v44, v4                                 // 000000008A74: 6858092C
	v_add_u32_e32 v45, v45, v4                                 // 000000008A78: 685A092D
	s_waitcnt lgkmcnt(0)                                       // 000000008A7C: BF8CC07F
	s_barrier                                                  // 000000008A80: BF8A0000
	ds_read_b32 v56, v21                                       // 000000008A84: D86C0000 38000015
	ds_read_b32 v57, v21 offset:64                             // 000000008A8C: D86C0040 39000015
	ds_read_b32 v60, v21 offset:2176                           // 000000008A94: D86C0880 3C000015
	ds_read_b32 v61, v21 offset:2240                           // 000000008A9C: D86C08C0 3D000015
	ds_read_b32 v64, v21 offset:4352                           // 000000008AA4: D86C1100 40000015
	ds_read_b32 v65, v21 offset:4416                           // 000000008AAC: D86C1140 41000015
	ds_read_b32 v68, v21 offset:6528                           // 000000008AB4: D86C1980 44000015
	ds_read_b32 v69, v21 offset:6592                           // 000000008ABC: D86C19C0 45000015
	ds_read_b32 v72, v21 offset:8704                           // 000000008AC4: D86C2200 48000015
	ds_read_b32 v73, v21 offset:8768                           // 000000008ACC: D86C2240 49000015
	ds_read_b32 v76, v21 offset:10880                          // 000000008AD4: D86C2A80 4C000015
	ds_read_b32 v77, v21 offset:10944                          // 000000008ADC: D86C2AC0 4D000015
	ds_read_b32 v80, v21 offset:13056                          // 000000008AE4: D86C3300 50000015
	ds_read_b32 v81, v21 offset:13120                          // 000000008AEC: D86C3340 51000015
	ds_read_b32 v84, v21 offset:15232                          // 000000008AF4: D86C3B80 54000015
	ds_read_b32 v85, v21 offset:15296                          // 000000008AFC: D86C3BC0 55000015
	ds_read_b32 v88, v21 offset:17408                          // 000000008B04: D86C4400 58000015
	ds_read_b32 v89, v21 offset:17472                          // 000000008B0C: D86C4440 59000015
	ds_read_b32 v92, v21 offset:19584                          // 000000008B14: D86C4C80 5C000015
	ds_read_b32 v93, v21 offset:19648                          // 000000008B1C: D86C4CC0 5D000015
	ds_read_b32 v96, v21 offset:21760                          // 000000008B24: D86C5500 60000015
	ds_read_b32 v97, v21 offset:21824                          // 000000008B2C: D86C5540 61000015
	ds_read_b32 v100, v21 offset:23936                         // 000000008B34: D86C5D80 64000015
	ds_read_b32 v101, v21 offset:24000                         // 000000008B3C: D86C5DC0 65000015
	ds_read_b32 v104, v21 offset:26112                         // 000000008B44: D86C6600 68000015
	ds_read_b32 v105, v21 offset:26176                         // 000000008B4C: D86C6640 69000015
	ds_read_b32 v108, v21 offset:28288                         // 000000008B54: D86C6E80 6C000015
	ds_read_b32 v109, v21 offset:28352                         // 000000008B5C: D86C6EC0 6D000015
	ds_read_b32 v112, v21 offset:30464                         // 000000008B64: D86C7700 70000015
	ds_read_b32 v113, v21 offset:30528                         // 000000008B6C: D86C7740 71000015
	ds_read_b32 v116, v21 offset:32640                         // 000000008B74: D86C7F80 74000015
	ds_read_b32 v117, v21 offset:32704                         // 000000008B7C: D86C7FC0 75000015
	ds_read_b32 v120, v21 offset:34816                         // 000000008B84: D86C8800 78000015
	ds_read_b32 v121, v21 offset:34880                         // 000000008B8C: D86C8840 79000015
	ds_read_b32 v124, v21 offset:36992                         // 000000008B94: D86C9080 7C000015
	ds_read_b32 v125, v21 offset:37056                         // 000000008B9C: D86C90C0 7D000015
	ds_read_b32 v128, v21 offset:39168                         // 000000008BA4: D86C9900 80000015
	ds_read_b32 v129, v21 offset:39232                         // 000000008BAC: D86C9940 81000015
	ds_read_b32 v132, v21 offset:41344                         // 000000008BB4: D86CA180 84000015
	ds_read_b32 v133, v21 offset:41408                         // 000000008BBC: D86CA1C0 85000015
	ds_read_b32 v136, v21 offset:43520                         // 000000008BC4: D86CAA00 88000015
	ds_read_b32 v137, v21 offset:43584                         // 000000008BCC: D86CAA40 89000015
	ds_read_b32 v140, v21 offset:45696                         // 000000008BD4: D86CB280 8C000015
	ds_read_b32 v141, v21 offset:45760                         // 000000008BDC: D86CB2C0 8D000015
	ds_read_b32 v144, v21 offset:47872                         // 000000008BE4: D86CBB00 90000015
	ds_read_b32 v145, v21 offset:47936                         // 000000008BEC: D86CBB40 91000015
	ds_read_b32 v148, v21 offset:50048                         // 000000008BF4: D86CC380 94000015
	ds_read_b32 v149, v21 offset:50112                         // 000000008BFC: D86CC3C0 95000015
	s_waitcnt lgkmcnt(0)                                       // 000000008C04: BF8CC07F
	s_mov_b32 s36, -1                                          // 000000008C08: BEA400C1
	s_mov_b32 s37, -1                                          // 000000008C0C: BEA500C1
	v_mov_b32_e32 v7, 0                                        // 000000008C10: 7E0E0280
	s_mov_b64 exec, s[36:37]                                   // 000000008C14: BEFE0124
	v_mov_b32_e32 v6, v40                                      // 000000008C18: 7E0C0328
	s_mov_b64 s[60:61], 0                                      // 000000008C1C: BEBC0180
	v_readlane_b32 s82, v3, 0                                  // 000000008C20: D2890052 00010103
	s_and_b32 s82, s82, 0xffffff                               // 000000008C28: 8652FF52 00FFFFFF
	s_cmp_lt_u32 s82, s66                                      // 000000008C30: BF0A4252
	s_cselect_b32 s20, s36, s60                                // 000000008C34: 85143C24
	v_readlane_b32 s82, v3, 1                                  // 000000008C38: D2890052 00010303
	s_and_b32 s82, s82, 0xffffff                               // 000000008C40: 8652FF52 00FFFFFF
	s_cmp_lt_u32 s82, s66                                      // 000000008C48: BF0A4252
	s_cselect_b32 s21, s36, s60                                // 000000008C4C: 85153C24
	s_mov_b64 exec, s[20:21]                                   // 000000008C50: BEFE0114
	global_atomic_add_f32 v6, v56, s[8:9]                      // 000000008C54: DD348000 00083806
	global_atomic_add_f32 v6, v60, s[8:9] offset:256           // 000000008C5C: DD348100 00083C06
	global_atomic_add_f32 v6, v64, s[8:9] offset:512           // 000000008C64: DD348200 00084006
	global_atomic_add_f32 v6, v68, s[8:9] offset:768           // 000000008C6C: DD348300 00084406
	global_atomic_add_f32 v6, v72, s[8:9] offset:1024          // 000000008C74: DD348400 00084806
	global_atomic_add_f32 v6, v76, s[8:9] offset:1280          // 000000008C7C: DD348500 00084C06
	global_atomic_add_f32 v6, v80, s[8:9] offset:1536          // 000000008C84: DD348600 00085006
	global_atomic_add_f32 v6, v84, s[8:9] offset:1792          // 000000008C8C: DD348700 00085406
	s_mov_b64 exec, s[36:37]                                   // 000000008C94: BEFE0124
	v_mov_b32_e32 v6, v41                                      // 000000008C98: 7E0C0329
	s_mov_b64 s[60:61], 0                                      // 000000008C9C: BEBC0180
	v_readlane_b32 s82, v3, 2                                  // 000000008CA0: D2890052 00010503
	s_and_b32 s82, s82, 0xffffff                               // 000000008CA8: 8652FF52 00FFFFFF
	s_cmp_lt_u32 s82, s66                                      // 000000008CB0: BF0A4252
	s_cselect_b32 s20, s36, s60                                // 000000008CB4: 85143C24
	v_readlane_b32 s82, v3, 3                                  // 000000008CB8: D2890052 00010703
	s_and_b32 s82, s82, 0xffffff                               // 000000008CC0: 8652FF52 00FFFFFF
	s_cmp_lt_u32 s82, s66                                      // 000000008CC8: BF0A4252
	s_cselect_b32 s21, s36, s60                                // 000000008CCC: 85153C24
	s_mov_b64 exec, s[20:21]                                   // 000000008CD0: BEFE0114
	global_atomic_add_f32 v6, v57, s[8:9]                      // 000000008CD4: DD348000 00083906
	global_atomic_add_f32 v6, v61, s[8:9] offset:256           // 000000008CDC: DD348100 00083D06
	global_atomic_add_f32 v6, v65, s[8:9] offset:512           // 000000008CE4: DD348200 00084106
	global_atomic_add_f32 v6, v69, s[8:9] offset:768           // 000000008CEC: DD348300 00084506
	global_atomic_add_f32 v6, v73, s[8:9] offset:1024          // 000000008CF4: DD348400 00084906
	global_atomic_add_f32 v6, v77, s[8:9] offset:1280          // 000000008CFC: DD348500 00084D06
	global_atomic_add_f32 v6, v81, s[8:9] offset:1536          // 000000008D04: DD348600 00085106
	global_atomic_add_f32 v6, v85, s[8:9] offset:1792          // 000000008D0C: DD348700 00085506
	s_mov_b64 exec, s[36:37]                                   // 000000008D14: BEFE0124
	v_mov_b32_e32 v6, v42                                      // 000000008D18: 7E0C032A
	s_mov_b64 s[60:61], 0                                      // 000000008D1C: BEBC0180
	v_readlane_b32 s82, v3, 4                                  // 000000008D20: D2890052 00010903
	s_and_b32 s82, s82, 0xffffff                               // 000000008D28: 8652FF52 00FFFFFF
	s_cmp_lt_u32 s82, s66                                      // 000000008D30: BF0A4252
	s_cselect_b32 s20, s36, s60                                // 000000008D34: 85143C24
	v_readlane_b32 s82, v3, 5                                  // 000000008D38: D2890052 00010B03
	s_and_b32 s82, s82, 0xffffff                               // 000000008D40: 8652FF52 00FFFFFF
	s_cmp_lt_u32 s82, s66                                      // 000000008D48: BF0A4252
	s_cselect_b32 s21, s36, s60                                // 000000008D4C: 85153C24
	s_mov_b64 exec, s[20:21]                                   // 000000008D50: BEFE0114
	global_atomic_add_f32 v6, v88, s[8:9]                      // 000000008D54: DD348000 00085806
	global_atomic_add_f32 v6, v92, s[8:9] offset:256           // 000000008D5C: DD348100 00085C06
	global_atomic_add_f32 v6, v96, s[8:9] offset:512           // 000000008D64: DD348200 00086006
	global_atomic_add_f32 v6, v100, s[8:9] offset:768          // 000000008D6C: DD348300 00086406
	global_atomic_add_f32 v6, v104, s[8:9] offset:1024         // 000000008D74: DD348400 00086806
	global_atomic_add_f32 v6, v108, s[8:9] offset:1280         // 000000008D7C: DD348500 00086C06
	global_atomic_add_f32 v6, v112, s[8:9] offset:1536         // 000000008D84: DD348600 00087006
	global_atomic_add_f32 v6, v116, s[8:9] offset:1792         // 000000008D8C: DD348700 00087406
	s_mov_b64 exec, s[36:37]                                   // 000000008D94: BEFE0124
	v_mov_b32_e32 v6, v43                                      // 000000008D98: 7E0C032B
	s_mov_b64 s[60:61], 0                                      // 000000008D9C: BEBC0180
	v_readlane_b32 s82, v3, 6                                  // 000000008DA0: D2890052 00010D03
	s_and_b32 s82, s82, 0xffffff                               // 000000008DA8: 8652FF52 00FFFFFF
	s_cmp_lt_u32 s82, s66                                      // 000000008DB0: BF0A4252
	s_cselect_b32 s20, s36, s60                                // 000000008DB4: 85143C24
	v_readlane_b32 s82, v3, 7                                  // 000000008DB8: D2890052 00010F03
	s_and_b32 s82, s82, 0xffffff                               // 000000008DC0: 8652FF52 00FFFFFF
	s_cmp_lt_u32 s82, s66                                      // 000000008DC8: BF0A4252
	s_cselect_b32 s21, s36, s60                                // 000000008DCC: 85153C24
	s_mov_b64 exec, s[20:21]                                   // 000000008DD0: BEFE0114
	global_atomic_add_f32 v6, v89, s[8:9]                      // 000000008DD4: DD348000 00085906
	global_atomic_add_f32 v6, v93, s[8:9] offset:256           // 000000008DDC: DD348100 00085D06
	global_atomic_add_f32 v6, v97, s[8:9] offset:512           // 000000008DE4: DD348200 00086106
	global_atomic_add_f32 v6, v101, s[8:9] offset:768          // 000000008DEC: DD348300 00086506
	global_atomic_add_f32 v6, v105, s[8:9] offset:1024         // 000000008DF4: DD348400 00086906
	global_atomic_add_f32 v6, v109, s[8:9] offset:1280         // 000000008DFC: DD348500 00086D06
	global_atomic_add_f32 v6, v113, s[8:9] offset:1536         // 000000008E04: DD348600 00087106
	global_atomic_add_f32 v6, v117, s[8:9] offset:1792         // 000000008E0C: DD348700 00087506
	s_mov_b64 exec, s[36:37]                                   // 000000008E14: BEFE0124
	v_mov_b32_e32 v6, v44                                      // 000000008E18: 7E0C032C
	s_mov_b64 s[60:61], 0                                      // 000000008E1C: BEBC0180
	v_readlane_b32 s82, v3, 8                                  // 000000008E20: D2890052 00011103
	s_and_b32 s82, s82, 0xffffff                               // 000000008E28: 8652FF52 00FFFFFF
	s_cmp_lt_u32 s82, s66                                      // 000000008E30: BF0A4252
	s_cselect_b32 s20, s36, s60                                // 000000008E34: 85143C24
	v_readlane_b32 s82, v3, 9                                  // 000000008E38: D2890052 00011303
	s_and_b32 s82, s82, 0xffffff                               // 000000008E40: 8652FF52 00FFFFFF
	s_cmp_lt_u32 s82, s66                                      // 000000008E48: BF0A4252
	s_cselect_b32 s21, s36, s60                                // 000000008E4C: 85153C24
	s_mov_b64 exec, s[20:21]                                   // 000000008E50: BEFE0114
	global_atomic_add_f32 v6, v120, s[8:9]                     // 000000008E54: DD348000 00087806
	global_atomic_add_f32 v6, v124, s[8:9] offset:256          // 000000008E5C: DD348100 00087C06
	global_atomic_add_f32 v6, v128, s[8:9] offset:512          // 000000008E64: DD348200 00088006
	global_atomic_add_f32 v6, v132, s[8:9] offset:768          // 000000008E6C: DD348300 00088406
	global_atomic_add_f32 v6, v136, s[8:9] offset:1024         // 000000008E74: DD348400 00088806
	global_atomic_add_f32 v6, v140, s[8:9] offset:1280         // 000000008E7C: DD348500 00088C06
	global_atomic_add_f32 v6, v144, s[8:9] offset:1536         // 000000008E84: DD348600 00089006
	global_atomic_add_f32 v6, v148, s[8:9] offset:1792         // 000000008E8C: DD348700 00089406
	s_mov_b64 exec, s[36:37]                                   // 000000008E94: BEFE0124
	v_mov_b32_e32 v6, v45                                      // 000000008E98: 7E0C032D
	s_mov_b64 s[60:61], 0                                      // 000000008E9C: BEBC0180
	v_readlane_b32 s82, v3, 10                                 // 000000008EA0: D2890052 00011503
	s_and_b32 s82, s82, 0xffffff                               // 000000008EA8: 8652FF52 00FFFFFF
	s_cmp_lt_u32 s82, s66                                      // 000000008EB0: BF0A4252
	s_cselect_b32 s20, s36, s60                                // 000000008EB4: 85143C24
	v_readlane_b32 s82, v3, 11                                 // 000000008EB8: D2890052 00011703
	s_and_b32 s82, s82, 0xffffff                               // 000000008EC0: 8652FF52 00FFFFFF
	s_cmp_lt_u32 s82, s66                                      // 000000008EC8: BF0A4252
	s_cselect_b32 s21, s36, s60                                // 000000008ECC: 85153C24
	s_mov_b64 exec, s[20:21]                                   // 000000008ED0: BEFE0114
	global_atomic_add_f32 v6, v121, s[8:9]                     // 000000008ED4: DD348000 00087906
	global_atomic_add_f32 v6, v125, s[8:9] offset:256          // 000000008EDC: DD348100 00087D06
	global_atomic_add_f32 v6, v129, s[8:9] offset:512          // 000000008EE4: DD348200 00088106
	global_atomic_add_f32 v6, v133, s[8:9] offset:768          // 000000008EEC: DD348300 00088506
	global_atomic_add_f32 v6, v137, s[8:9] offset:1024         // 000000008EF4: DD348400 00088906
	global_atomic_add_f32 v6, v141, s[8:9] offset:1280         // 000000008EFC: DD348500 00088D06
	global_atomic_add_f32 v6, v145, s[8:9] offset:1536         // 000000008F04: DD348600 00089106
	global_atomic_add_f32 v6, v149, s[8:9] offset:1792         // 000000008F0C: DD348700 00089506
	s_mov_b64 exec, s[36:37]                                   // 000000008F14: BEFE0124
	ds_write_b64 v20, v[58:59]                                 // 000000008F18: D89A0000 00003A14
	ds_write_b64 v20, v[62:63] offset:17408                    // 000000008F20: D89A4400 00003E14
	ds_write_b64 v20, v[66:67] offset:34816                    // 000000008F28: D89A8800 00004214
	ds_write_b64 v20, v[70:71] offset:2176                     // 000000008F30: D89A0880 00004614
	ds_write_b64 v20, v[74:75] offset:19584                    // 000000008F38: D89A4C80 00004A14
	ds_write_b64 v20, v[78:79] offset:36992                    // 000000008F40: D89A9080 00004E14
	ds_write_b64 v20, v[82:83] offset:4352                     // 000000008F48: D89A1100 00005214
	ds_write_b64 v20, v[86:87] offset:21760                    // 000000008F50: D89A5500 00005614
	ds_write_b64 v20, v[90:91] offset:39168                    // 000000008F58: D89A9900 00005A14
	ds_write_b64 v20, v[94:95] offset:6528                     // 000000008F60: D89A1980 00005E14
	ds_write_b64 v20, v[98:99] offset:23936                    // 000000008F68: D89A5D80 00006214
	ds_write_b64 v20, v[102:103] offset:41344                  // 000000008F70: D89AA180 00006614
	ds_write_b64 v20, v[106:107] offset:8704                   // 000000008F78: D89A2200 00006A14
	ds_write_b64 v20, v[110:111] offset:26112                  // 000000008F80: D89A6600 00006E14
	ds_write_b64 v20, v[114:115] offset:43520                  // 000000008F88: D89AAA00 00007214
	ds_write_b64 v20, v[118:119] offset:10880                  // 000000008F90: D89A2A80 00007614
	ds_write_b64 v20, v[122:123] offset:28288                  // 000000008F98: D89A6E80 00007A14
	ds_write_b64 v20, v[126:127] offset:45696                  // 000000008FA0: D89AB280 00007E14
	ds_write_b64 v20, v[130:131] offset:13056                  // 000000008FA8: D89A3300 00008214
	ds_write_b64 v20, v[134:135] offset:30464                  // 000000008FB0: D89A7700 00008614
	ds_write_b64 v20, v[138:139] offset:47872                  // 000000008FB8: D89ABB00 00008A14
	ds_write_b64 v20, v[142:143] offset:15232                  // 000000008FC0: D89A3B80 00008E14
	ds_write_b64 v20, v[146:147] offset:32640                  // 000000008FC8: D89A7F80 00009214
	ds_write_b64 v20, v[150:151] offset:50048                  // 000000008FD0: D89AC380 00009614
	s_waitcnt lgkmcnt(0)                                       // 000000008FD8: BF8CC07F
	s_barrier                                                  // 000000008FDC: BF8A0000
	ds_read_b32 v58, v21                                       // 000000008FE0: D86C0000 3A000015
	ds_read_b32 v59, v21 offset:64                             // 000000008FE8: D86C0040 3B000015
	ds_read_b32 v62, v21 offset:2176                           // 000000008FF0: D86C0880 3E000015
	ds_read_b32 v63, v21 offset:2240                           // 000000008FF8: D86C08C0 3F000015
	ds_read_b32 v66, v21 offset:4352                           // 000000009000: D86C1100 42000015
	ds_read_b32 v67, v21 offset:4416                           // 000000009008: D86C1140 43000015
	ds_read_b32 v70, v21 offset:6528                           // 000000009010: D86C1980 46000015
	ds_read_b32 v71, v21 offset:6592                           // 000000009018: D86C19C0 47000015
	ds_read_b32 v74, v21 offset:8704                           // 000000009020: D86C2200 4A000015
	ds_read_b32 v75, v21 offset:8768                           // 000000009028: D86C2240 4B000015
	ds_read_b32 v78, v21 offset:10880                          // 000000009030: D86C2A80 4E000015
	ds_read_b32 v79, v21 offset:10944                          // 000000009038: D86C2AC0 4F000015
	ds_read_b32 v82, v21 offset:13056                          // 000000009040: D86C3300 52000015
	ds_read_b32 v83, v21 offset:13120                          // 000000009048: D86C3340 53000015
	ds_read_b32 v86, v21 offset:15232                          // 000000009050: D86C3B80 56000015
	ds_read_b32 v87, v21 offset:15296                          // 000000009058: D86C3BC0 57000015
	ds_read_b32 v90, v21 offset:17408                          // 000000009060: D86C4400 5A000015
	ds_read_b32 v91, v21 offset:17472                          // 000000009068: D86C4440 5B000015
	ds_read_b32 v94, v21 offset:19584                          // 000000009070: D86C4C80 5E000015
	ds_read_b32 v95, v21 offset:19648                          // 000000009078: D86C4CC0 5F000015
	ds_read_b32 v98, v21 offset:21760                          // 000000009080: D86C5500 62000015
	ds_read_b32 v99, v21 offset:21824                          // 000000009088: D86C5540 63000015
	ds_read_b32 v102, v21 offset:23936                         // 000000009090: D86C5D80 66000015
	ds_read_b32 v103, v21 offset:24000                         // 000000009098: D86C5DC0 67000015
	ds_read_b32 v106, v21 offset:26112                         // 0000000090A0: D86C6600 6A000015
	ds_read_b32 v107, v21 offset:26176                         // 0000000090A8: D86C6640 6B000015
	ds_read_b32 v110, v21 offset:28288                         // 0000000090B0: D86C6E80 6E000015
	ds_read_b32 v111, v21 offset:28352                         // 0000000090B8: D86C6EC0 6F000015
	ds_read_b32 v114, v21 offset:30464                         // 0000000090C0: D86C7700 72000015
	ds_read_b32 v115, v21 offset:30528                         // 0000000090C8: D86C7740 73000015
	ds_read_b32 v118, v21 offset:32640                         // 0000000090D0: D86C7F80 76000015
	ds_read_b32 v119, v21 offset:32704                         // 0000000090D8: D86C7FC0 77000015
	ds_read_b32 v122, v21 offset:34816                         // 0000000090E0: D86C8800 7A000015
	ds_read_b32 v123, v21 offset:34880                         // 0000000090E8: D86C8840 7B000015
	ds_read_b32 v126, v21 offset:36992                         // 0000000090F0: D86C9080 7E000015
	ds_read_b32 v127, v21 offset:37056                         // 0000000090F8: D86C90C0 7F000015
	ds_read_b32 v130, v21 offset:39168                         // 000000009100: D86C9900 82000015
	ds_read_b32 v131, v21 offset:39232                         // 000000009108: D86C9940 83000015
	ds_read_b32 v134, v21 offset:41344                         // 000000009110: D86CA180 86000015
	ds_read_b32 v135, v21 offset:41408                         // 000000009118: D86CA1C0 87000015
	ds_read_b32 v138, v21 offset:43520                         // 000000009120: D86CAA00 8A000015
	ds_read_b32 v139, v21 offset:43584                         // 000000009128: D86CAA40 8B000015
	ds_read_b32 v142, v21 offset:45696                         // 000000009130: D86CB280 8E000015
	ds_read_b32 v143, v21 offset:45760                         // 000000009138: D86CB2C0 8F000015
	ds_read_b32 v146, v21 offset:47872                         // 000000009140: D86CBB00 92000015
	ds_read_b32 v147, v21 offset:47936                         // 000000009148: D86CBB40 93000015
	ds_read_b32 v150, v21 offset:50048                         // 000000009150: D86CC380 96000015
	ds_read_b32 v151, v21 offset:50112                         // 000000009158: D86CC3C0 97000015
	s_waitcnt lgkmcnt(0)                                       // 000000009160: BF8CC07F
	v_mov_b32_e32 v7, 0                                        // 000000009164: 7E0E0280
	s_mov_b64 exec, s[36:37]                                   // 000000009168: BEFE0124
	v_mov_b32_e32 v6, v40                                      // 00000000916C: 7E0C0328
	s_mov_b64 s[60:61], 0                                      // 000000009170: BEBC0180
	v_readlane_b32 s82, v3, 0                                  // 000000009174: D2890052 00010103
	s_and_b32 s82, s82, 0xffffff                               // 00000000917C: 8652FF52 00FFFFFF
	s_cmp_lt_u32 s82, s66                                      // 000000009184: BF0A4252
	s_cselect_b32 s20, s36, s60                                // 000000009188: 85143C24
	v_readlane_b32 s82, v3, 1                                  // 00000000918C: D2890052 00010303
	s_and_b32 s82, s82, 0xffffff                               // 000000009194: 8652FF52 00FFFFFF
	s_cmp_lt_u32 s82, s66                                      // 00000000919C: BF0A4252
	s_cselect_b32 s21, s36, s60                                // 0000000091A0: 85153C24
	s_mov_b64 exec, s[20:21]                                   // 0000000091A4: BEFE0114
	global_atomic_add_f32 v6, v58, s[8:9] offset:8             // 0000000091A8: DD348008 00083A06
	global_atomic_add_f32 v6, v62, s[8:9] offset:264           // 0000000091B0: DD348108 00083E06
	global_atomic_add_f32 v6, v66, s[8:9] offset:520           // 0000000091B8: DD348208 00084206
	global_atomic_add_f32 v6, v70, s[8:9] offset:776           // 0000000091C0: DD348308 00084606
	global_atomic_add_f32 v6, v74, s[8:9] offset:1032          // 0000000091C8: DD348408 00084A06
	global_atomic_add_f32 v6, v78, s[8:9] offset:1288          // 0000000091D0: DD348508 00084E06
	global_atomic_add_f32 v6, v82, s[8:9] offset:1544          // 0000000091D8: DD348608 00085206
	global_atomic_add_f32 v6, v86, s[8:9] offset:1800          // 0000000091E0: DD348708 00085606
	s_mov_b64 exec, s[36:37]                                   // 0000000091E8: BEFE0124
	v_mov_b32_e32 v6, v41                                      // 0000000091EC: 7E0C0329
	s_mov_b64 s[60:61], 0                                      // 0000000091F0: BEBC0180
	v_readlane_b32 s82, v3, 2                                  // 0000000091F4: D2890052 00010503
	s_and_b32 s82, s82, 0xffffff                               // 0000000091FC: 8652FF52 00FFFFFF
	s_cmp_lt_u32 s82, s66                                      // 000000009204: BF0A4252
	s_cselect_b32 s20, s36, s60                                // 000000009208: 85143C24
	v_readlane_b32 s82, v3, 3                                  // 00000000920C: D2890052 00010703
	s_and_b32 s82, s82, 0xffffff                               // 000000009214: 8652FF52 00FFFFFF
	s_cmp_lt_u32 s82, s66                                      // 00000000921C: BF0A4252
	s_cselect_b32 s21, s36, s60                                // 000000009220: 85153C24
	s_mov_b64 exec, s[20:21]                                   // 000000009224: BEFE0114
	global_atomic_add_f32 v6, v59, s[8:9] offset:8             // 000000009228: DD348008 00083B06
	global_atomic_add_f32 v6, v63, s[8:9] offset:264           // 000000009230: DD348108 00083F06
	global_atomic_add_f32 v6, v67, s[8:9] offset:520           // 000000009238: DD348208 00084306
	global_atomic_add_f32 v6, v71, s[8:9] offset:776           // 000000009240: DD348308 00084706
	global_atomic_add_f32 v6, v75, s[8:9] offset:1032          // 000000009248: DD348408 00084B06
	global_atomic_add_f32 v6, v79, s[8:9] offset:1288          // 000000009250: DD348508 00084F06
	global_atomic_add_f32 v6, v83, s[8:9] offset:1544          // 000000009258: DD348608 00085306
	global_atomic_add_f32 v6, v87, s[8:9] offset:1800          // 000000009260: DD348708 00085706
	s_mov_b64 exec, s[36:37]                                   // 000000009268: BEFE0124
	v_mov_b32_e32 v6, v42                                      // 00000000926C: 7E0C032A
	s_mov_b64 s[60:61], 0                                      // 000000009270: BEBC0180
	v_readlane_b32 s82, v3, 4                                  // 000000009274: D2890052 00010903
	s_and_b32 s82, s82, 0xffffff                               // 00000000927C: 8652FF52 00FFFFFF
	s_cmp_lt_u32 s82, s66                                      // 000000009284: BF0A4252
	s_cselect_b32 s20, s36, s60                                // 000000009288: 85143C24
	v_readlane_b32 s82, v3, 5                                  // 00000000928C: D2890052 00010B03
	s_and_b32 s82, s82, 0xffffff                               // 000000009294: 8652FF52 00FFFFFF
	s_cmp_lt_u32 s82, s66                                      // 00000000929C: BF0A4252
	s_cselect_b32 s21, s36, s60                                // 0000000092A0: 85153C24
	s_mov_b64 exec, s[20:21]                                   // 0000000092A4: BEFE0114
	global_atomic_add_f32 v6, v90, s[8:9] offset:8             // 0000000092A8: DD348008 00085A06
	global_atomic_add_f32 v6, v94, s[8:9] offset:264           // 0000000092B0: DD348108 00085E06
	global_atomic_add_f32 v6, v98, s[8:9] offset:520           // 0000000092B8: DD348208 00086206
	global_atomic_add_f32 v6, v102, s[8:9] offset:776          // 0000000092C0: DD348308 00086606
	global_atomic_add_f32 v6, v106, s[8:9] offset:1032         // 0000000092C8: DD348408 00086A06
	global_atomic_add_f32 v6, v110, s[8:9] offset:1288         // 0000000092D0: DD348508 00086E06
	global_atomic_add_f32 v6, v114, s[8:9] offset:1544         // 0000000092D8: DD348608 00087206
	global_atomic_add_f32 v6, v118, s[8:9] offset:1800         // 0000000092E0: DD348708 00087606
	s_mov_b64 exec, s[36:37]                                   // 0000000092E8: BEFE0124
	v_mov_b32_e32 v6, v43                                      // 0000000092EC: 7E0C032B
	s_mov_b64 s[60:61], 0                                      // 0000000092F0: BEBC0180
	v_readlane_b32 s82, v3, 6                                  // 0000000092F4: D2890052 00010D03
	s_and_b32 s82, s82, 0xffffff                               // 0000000092FC: 8652FF52 00FFFFFF
	s_cmp_lt_u32 s82, s66                                      // 000000009304: BF0A4252
	s_cselect_b32 s20, s36, s60                                // 000000009308: 85143C24
	v_readlane_b32 s82, v3, 7                                  // 00000000930C: D2890052 00010F03
	s_and_b32 s82, s82, 0xffffff                               // 000000009314: 8652FF52 00FFFFFF
	s_cmp_lt_u32 s82, s66                                      // 00000000931C: BF0A4252
	s_cselect_b32 s21, s36, s60                                // 000000009320: 85153C24
	s_mov_b64 exec, s[20:21]                                   // 000000009324: BEFE0114
	global_atomic_add_f32 v6, v91, s[8:9] offset:8             // 000000009328: DD348008 00085B06
	global_atomic_add_f32 v6, v95, s[8:9] offset:264           // 000000009330: DD348108 00085F06
	global_atomic_add_f32 v6, v99, s[8:9] offset:520           // 000000009338: DD348208 00086306
	global_atomic_add_f32 v6, v103, s[8:9] offset:776          // 000000009340: DD348308 00086706
	global_atomic_add_f32 v6, v107, s[8:9] offset:1032         // 000000009348: DD348408 00086B06
	global_atomic_add_f32 v6, v111, s[8:9] offset:1288         // 000000009350: DD348508 00086F06
	global_atomic_add_f32 v6, v115, s[8:9] offset:1544         // 000000009358: DD348608 00087306
	global_atomic_add_f32 v6, v119, s[8:9] offset:1800         // 000000009360: DD348708 00087706
	s_mov_b64 exec, s[36:37]                                   // 000000009368: BEFE0124
	v_mov_b32_e32 v6, v44                                      // 00000000936C: 7E0C032C
	s_mov_b64 s[60:61], 0                                      // 000000009370: BEBC0180
	v_readlane_b32 s82, v3, 8                                  // 000000009374: D2890052 00011103
	s_and_b32 s82, s82, 0xffffff                               // 00000000937C: 8652FF52 00FFFFFF
	s_cmp_lt_u32 s82, s66                                      // 000000009384: BF0A4252
	s_cselect_b32 s20, s36, s60                                // 000000009388: 85143C24
	v_readlane_b32 s82, v3, 9                                  // 00000000938C: D2890052 00011303
	s_and_b32 s82, s82, 0xffffff                               // 000000009394: 8652FF52 00FFFFFF
	s_cmp_lt_u32 s82, s66                                      // 00000000939C: BF0A4252
	s_cselect_b32 s21, s36, s60                                // 0000000093A0: 85153C24
	s_mov_b64 exec, s[20:21]                                   // 0000000093A4: BEFE0114
	global_atomic_add_f32 v6, v122, s[8:9] offset:8            // 0000000093A8: DD348008 00087A06
	global_atomic_add_f32 v6, v126, s[8:9] offset:264          // 0000000093B0: DD348108 00087E06
	global_atomic_add_f32 v6, v130, s[8:9] offset:520          // 0000000093B8: DD348208 00088206
	global_atomic_add_f32 v6, v134, s[8:9] offset:776          // 0000000093C0: DD348308 00088606
	global_atomic_add_f32 v6, v138, s[8:9] offset:1032         // 0000000093C8: DD348408 00088A06
	global_atomic_add_f32 v6, v142, s[8:9] offset:1288         // 0000000093D0: DD348508 00088E06
	global_atomic_add_f32 v6, v146, s[8:9] offset:1544         // 0000000093D8: DD348608 00089206
	global_atomic_add_f32 v6, v150, s[8:9] offset:1800         // 0000000093E0: DD348708 00089606
	s_mov_b64 exec, s[36:37]                                   // 0000000093E8: BEFE0124
	v_mov_b32_e32 v6, v45                                      // 0000000093EC: 7E0C032D
	s_mov_b64 s[60:61], 0                                      // 0000000093F0: BEBC0180
	v_readlane_b32 s82, v3, 10                                 // 0000000093F4: D2890052 00011503
	s_and_b32 s82, s82, 0xffffff                               // 0000000093FC: 8652FF52 00FFFFFF
	s_cmp_lt_u32 s82, s66                                      // 000000009404: BF0A4252
	s_cselect_b32 s20, s36, s60                                // 000000009408: 85143C24
	v_readlane_b32 s82, v3, 11                                 // 00000000940C: D2890052 00011703
	s_and_b32 s82, s82, 0xffffff                               // 000000009414: 8652FF52 00FFFFFF
	s_cmp_lt_u32 s82, s66                                      // 00000000941C: BF0A4252
	s_cselect_b32 s21, s36, s60                                // 000000009420: 85153C24
	s_mov_b64 exec, s[20:21]                                   // 000000009424: BEFE0114
	global_atomic_add_f32 v6, v123, s[8:9] offset:8            // 000000009428: DD348008 00087B06
	global_atomic_add_f32 v6, v127, s[8:9] offset:264          // 000000009430: DD348108 00087F06
	global_atomic_add_f32 v6, v131, s[8:9] offset:520          // 000000009438: DD348208 00088306
	global_atomic_add_f32 v6, v135, s[8:9] offset:776          // 000000009440: DD348308 00088706
	global_atomic_add_f32 v6, v139, s[8:9] offset:1032         // 000000009448: DD348408 00088B06
	global_atomic_add_f32 v6, v143, s[8:9] offset:1288         // 000000009450: DD348508 00088F06
	global_atomic_add_f32 v6, v147, s[8:9] offset:1544         // 000000009458: DD348608 00089306
	global_atomic_add_f32 v6, v151, s[8:9] offset:1800         // 000000009460: DD348708 00089706
	s_mov_b64 exec, s[36:37]                                   // 000000009468: BEFE0124
	ds_write_b64 v20, v[152:153]                               // 00000000946C: D89A0000 00009814
	ds_write_b64 v20, v[156:157] offset:17408                  // 000000009474: D89A4400 00009C14
	ds_write_b64 v20, v[160:161] offset:34816                  // 00000000947C: D89A8800 0000A014
	ds_write_b64 v20, v[164:165] offset:2176                   // 000000009484: D89A0880 0000A414
	ds_write_b64 v20, v[168:169] offset:19584                  // 00000000948C: D89A4C80 0000A814
	ds_write_b64 v20, v[172:173] offset:36992                  // 000000009494: D89A9080 0000AC14
	ds_write_b64 v20, v[176:177] offset:4352                   // 00000000949C: D89A1100 0000B014
	ds_write_b64 v20, v[180:181] offset:21760                  // 0000000094A4: D89A5500 0000B414
	ds_write_b64 v20, v[184:185] offset:39168                  // 0000000094AC: D89A9900 0000B814
	ds_write_b64 v20, v[188:189] offset:6528                   // 0000000094B4: D89A1980 0000BC14
	ds_write_b64 v20, v[192:193] offset:23936                  // 0000000094BC: D89A5D80 0000C014
	ds_write_b64 v20, v[196:197] offset:41344                  // 0000000094C4: D89AA180 0000C414
	ds_write_b64 v20, v[200:201] offset:8704                   // 0000000094CC: D89A2200 0000C814
	ds_write_b64 v20, v[204:205] offset:26112                  // 0000000094D4: D89A6600 0000CC14
	ds_write_b64 v20, v[208:209] offset:43520                  // 0000000094DC: D89AAA00 0000D014
	ds_write_b64 v20, v[212:213] offset:10880                  // 0000000094E4: D89A2A80 0000D414
	ds_write_b64 v20, v[216:217] offset:28288                  // 0000000094EC: D89A6E80 0000D814
	ds_write_b64 v20, v[220:221] offset:45696                  // 0000000094F4: D89AB280 0000DC14
	ds_write_b64 v20, v[224:225] offset:13056                  // 0000000094FC: D89A3300 0000E014
	ds_write_b64 v20, v[228:229] offset:30464                  // 000000009504: D89A7700 0000E414
	ds_write_b64 v20, v[232:233] offset:47872                  // 00000000950C: D89ABB00 0000E814
	ds_write_b64 v20, v[236:237] offset:15232                  // 000000009514: D89A3B80 0000EC14
	ds_write_b64 v20, v[240:241] offset:32640                  // 00000000951C: D89A7F80 0000F014
	ds_write_b64 v20, v[244:245] offset:50048                  // 000000009524: D89AC380 0000F414
	s_waitcnt lgkmcnt(0)                                       // 00000000952C: BF8CC07F
	s_barrier                                                  // 000000009530: BF8A0000
	ds_read_b32 v152, v21                                      // 000000009534: D86C0000 98000015
	ds_read_b32 v153, v21 offset:64                            // 00000000953C: D86C0040 99000015
	ds_read_b32 v156, v21 offset:2176                          // 000000009544: D86C0880 9C000015
	ds_read_b32 v157, v21 offset:2240                          // 00000000954C: D86C08C0 9D000015
	ds_read_b32 v160, v21 offset:4352                          // 000000009554: D86C1100 A0000015
	ds_read_b32 v161, v21 offset:4416                          // 00000000955C: D86C1140 A1000015
	ds_read_b32 v164, v21 offset:6528                          // 000000009564: D86C1980 A4000015
	ds_read_b32 v165, v21 offset:6592                          // 00000000956C: D86C19C0 A5000015
	ds_read_b32 v168, v21 offset:8704                          // 000000009574: D86C2200 A8000015
	ds_read_b32 v169, v21 offset:8768                          // 00000000957C: D86C2240 A9000015
	ds_read_b32 v172, v21 offset:10880                         // 000000009584: D86C2A80 AC000015
	ds_read_b32 v173, v21 offset:10944                         // 00000000958C: D86C2AC0 AD000015
	ds_read_b32 v176, v21 offset:13056                         // 000000009594: D86C3300 B0000015
	ds_read_b32 v177, v21 offset:13120                         // 00000000959C: D86C3340 B1000015
	ds_read_b32 v180, v21 offset:15232                         // 0000000095A4: D86C3B80 B4000015
	ds_read_b32 v181, v21 offset:15296                         // 0000000095AC: D86C3BC0 B5000015
	ds_read_b32 v184, v21 offset:17408                         // 0000000095B4: D86C4400 B8000015
	ds_read_b32 v185, v21 offset:17472                         // 0000000095BC: D86C4440 B9000015
	ds_read_b32 v188, v21 offset:19584                         // 0000000095C4: D86C4C80 BC000015
	ds_read_b32 v189, v21 offset:19648                         // 0000000095CC: D86C4CC0 BD000015
	ds_read_b32 v192, v21 offset:21760                         // 0000000095D4: D86C5500 C0000015
	ds_read_b32 v193, v21 offset:21824                         // 0000000095DC: D86C5540 C1000015
	ds_read_b32 v196, v21 offset:23936                         // 0000000095E4: D86C5D80 C4000015
	ds_read_b32 v197, v21 offset:24000                         // 0000000095EC: D86C5DC0 C5000015
	ds_read_b32 v200, v21 offset:26112                         // 0000000095F4: D86C6600 C8000015
	ds_read_b32 v201, v21 offset:26176                         // 0000000095FC: D86C6640 C9000015
	ds_read_b32 v204, v21 offset:28288                         // 000000009604: D86C6E80 CC000015
	ds_read_b32 v205, v21 offset:28352                         // 00000000960C: D86C6EC0 CD000015
	ds_read_b32 v208, v21 offset:30464                         // 000000009614: D86C7700 D0000015
	ds_read_b32 v209, v21 offset:30528                         // 00000000961C: D86C7740 D1000015
	ds_read_b32 v212, v21 offset:32640                         // 000000009624: D86C7F80 D4000015
	ds_read_b32 v213, v21 offset:32704                         // 00000000962C: D86C7FC0 D5000015
	ds_read_b32 v216, v21 offset:34816                         // 000000009634: D86C8800 D8000015
	ds_read_b32 v217, v21 offset:34880                         // 00000000963C: D86C8840 D9000015
	ds_read_b32 v220, v21 offset:36992                         // 000000009644: D86C9080 DC000015
	ds_read_b32 v221, v21 offset:37056                         // 00000000964C: D86C90C0 DD000015
	ds_read_b32 v224, v21 offset:39168                         // 000000009654: D86C9900 E0000015
	ds_read_b32 v225, v21 offset:39232                         // 00000000965C: D86C9940 E1000015
	ds_read_b32 v228, v21 offset:41344                         // 000000009664: D86CA180 E4000015
	ds_read_b32 v229, v21 offset:41408                         // 00000000966C: D86CA1C0 E5000015
	ds_read_b32 v232, v21 offset:43520                         // 000000009674: D86CAA00 E8000015
	ds_read_b32 v233, v21 offset:43584                         // 00000000967C: D86CAA40 E9000015
	ds_read_b32 v236, v21 offset:45696                         // 000000009684: D86CB280 EC000015
	ds_read_b32 v237, v21 offset:45760                         // 00000000968C: D86CB2C0 ED000015
	ds_read_b32 v240, v21 offset:47872                         // 000000009694: D86CBB00 F0000015
	ds_read_b32 v241, v21 offset:47936                         // 00000000969C: D86CBB40 F1000015
	ds_read_b32 v244, v21 offset:50048                         // 0000000096A4: D86CC380 F4000015
	ds_read_b32 v245, v21 offset:50112                         // 0000000096AC: D86CC3C0 F5000015
	s_mul_i32 s60, s65, 4                                      // 0000000096B4: 923C8441
	s_add_u32 s8, s60, s8                                      // 0000000096B8: 8008083C
	s_addc_u32 s9, 0, s9                                       // 0000000096BC: 82090980
	s_waitcnt lgkmcnt(0)                                       // 0000000096C0: BF8CC07F
	v_mov_b32_e32 v7, 0                                        // 0000000096C4: 7E0E0280
	s_mov_b64 exec, s[36:37]                                   // 0000000096C8: BEFE0124
	v_mov_b32_e32 v6, v40                                      // 0000000096CC: 7E0C0328
	s_mov_b64 s[60:61], 0                                      // 0000000096D0: BEBC0180
	v_readlane_b32 s82, v3, 0                                  // 0000000096D4: D2890052 00010103
	s_and_b32 s82, s82, 0xffffff                               // 0000000096DC: 8652FF52 00FFFFFF
	s_cmp_lt_u32 s82, s66                                      // 0000000096E4: BF0A4252
	s_cselect_b32 s20, s36, s60                                // 0000000096E8: 85143C24
	v_readlane_b32 s82, v3, 1                                  // 0000000096EC: D2890052 00010303
	s_and_b32 s82, s82, 0xffffff                               // 0000000096F4: 8652FF52 00FFFFFF
	s_cmp_lt_u32 s82, s66                                      // 0000000096FC: BF0A4252
	s_cselect_b32 s21, s36, s60                                // 000000009700: 85153C24
	s_mov_b64 exec, s[20:21]                                   // 000000009704: BEFE0114
	global_atomic_add_f32 v6, v152, s[8:9]                     // 000000009708: DD348000 00089806
	global_atomic_add_f32 v6, v156, s[8:9] offset:256          // 000000009710: DD348100 00089C06
	global_atomic_add_f32 v6, v160, s[8:9] offset:512          // 000000009718: DD348200 0008A006
	global_atomic_add_f32 v6, v164, s[8:9] offset:768          // 000000009720: DD348300 0008A406
	global_atomic_add_f32 v6, v168, s[8:9] offset:1024         // 000000009728: DD348400 0008A806
	global_atomic_add_f32 v6, v172, s[8:9] offset:1280         // 000000009730: DD348500 0008AC06
	global_atomic_add_f32 v6, v176, s[8:9] offset:1536         // 000000009738: DD348600 0008B006
	global_atomic_add_f32 v6, v180, s[8:9] offset:1792         // 000000009740: DD348700 0008B406
	s_mov_b64 exec, s[36:37]                                   // 000000009748: BEFE0124
	v_mov_b32_e32 v6, v41                                      // 00000000974C: 7E0C0329
	s_mov_b64 s[60:61], 0                                      // 000000009750: BEBC0180
	v_readlane_b32 s82, v3, 2                                  // 000000009754: D2890052 00010503
	s_and_b32 s82, s82, 0xffffff                               // 00000000975C: 8652FF52 00FFFFFF
	s_cmp_lt_u32 s82, s66                                      // 000000009764: BF0A4252
	s_cselect_b32 s20, s36, s60                                // 000000009768: 85143C24
	v_readlane_b32 s82, v3, 3                                  // 00000000976C: D2890052 00010703
	s_and_b32 s82, s82, 0xffffff                               // 000000009774: 8652FF52 00FFFFFF
	s_cmp_lt_u32 s82, s66                                      // 00000000977C: BF0A4252
	s_cselect_b32 s21, s36, s60                                // 000000009780: 85153C24
	s_mov_b64 exec, s[20:21]                                   // 000000009784: BEFE0114
	global_atomic_add_f32 v6, v153, s[8:9]                     // 000000009788: DD348000 00089906
	global_atomic_add_f32 v6, v157, s[8:9] offset:256          // 000000009790: DD348100 00089D06
	global_atomic_add_f32 v6, v161, s[8:9] offset:512          // 000000009798: DD348200 0008A106
	global_atomic_add_f32 v6, v165, s[8:9] offset:768          // 0000000097A0: DD348300 0008A506
	global_atomic_add_f32 v6, v169, s[8:9] offset:1024         // 0000000097A8: DD348400 0008A906
	global_atomic_add_f32 v6, v173, s[8:9] offset:1280         // 0000000097B0: DD348500 0008AD06
	global_atomic_add_f32 v6, v177, s[8:9] offset:1536         // 0000000097B8: DD348600 0008B106
	global_atomic_add_f32 v6, v181, s[8:9] offset:1792         // 0000000097C0: DD348700 0008B506
	s_mov_b64 exec, s[36:37]                                   // 0000000097C8: BEFE0124
	v_mov_b32_e32 v6, v42                                      // 0000000097CC: 7E0C032A
	s_mov_b64 s[60:61], 0                                      // 0000000097D0: BEBC0180
	v_readlane_b32 s82, v3, 4                                  // 0000000097D4: D2890052 00010903
	s_and_b32 s82, s82, 0xffffff                               // 0000000097DC: 8652FF52 00FFFFFF
	s_cmp_lt_u32 s82, s66                                      // 0000000097E4: BF0A4252
	s_cselect_b32 s20, s36, s60                                // 0000000097E8: 85143C24
	v_readlane_b32 s82, v3, 5                                  // 0000000097EC: D2890052 00010B03
	s_and_b32 s82, s82, 0xffffff                               // 0000000097F4: 8652FF52 00FFFFFF
	s_cmp_lt_u32 s82, s66                                      // 0000000097FC: BF0A4252
	s_cselect_b32 s21, s36, s60                                // 000000009800: 85153C24
	s_mov_b64 exec, s[20:21]                                   // 000000009804: BEFE0114
	global_atomic_add_f32 v6, v184, s[8:9]                     // 000000009808: DD348000 0008B806
	global_atomic_add_f32 v6, v188, s[8:9] offset:256          // 000000009810: DD348100 0008BC06
	global_atomic_add_f32 v6, v192, s[8:9] offset:512          // 000000009818: DD348200 0008C006
	global_atomic_add_f32 v6, v196, s[8:9] offset:768          // 000000009820: DD348300 0008C406
	global_atomic_add_f32 v6, v200, s[8:9] offset:1024         // 000000009828: DD348400 0008C806
	global_atomic_add_f32 v6, v204, s[8:9] offset:1280         // 000000009830: DD348500 0008CC06
	global_atomic_add_f32 v6, v208, s[8:9] offset:1536         // 000000009838: DD348600 0008D006
	global_atomic_add_f32 v6, v212, s[8:9] offset:1792         // 000000009840: DD348700 0008D406
	s_mov_b64 exec, s[36:37]                                   // 000000009848: BEFE0124
	v_mov_b32_e32 v6, v43                                      // 00000000984C: 7E0C032B
	s_mov_b64 s[60:61], 0                                      // 000000009850: BEBC0180
	v_readlane_b32 s82, v3, 6                                  // 000000009854: D2890052 00010D03
	s_and_b32 s82, s82, 0xffffff                               // 00000000985C: 8652FF52 00FFFFFF
	s_cmp_lt_u32 s82, s66                                      // 000000009864: BF0A4252
	s_cselect_b32 s20, s36, s60                                // 000000009868: 85143C24
	v_readlane_b32 s82, v3, 7                                  // 00000000986C: D2890052 00010F03
	s_and_b32 s82, s82, 0xffffff                               // 000000009874: 8652FF52 00FFFFFF
	s_cmp_lt_u32 s82, s66                                      // 00000000987C: BF0A4252
	s_cselect_b32 s21, s36, s60                                // 000000009880: 85153C24
	s_mov_b64 exec, s[20:21]                                   // 000000009884: BEFE0114
	global_atomic_add_f32 v6, v185, s[8:9]                     // 000000009888: DD348000 0008B906
	global_atomic_add_f32 v6, v189, s[8:9] offset:256          // 000000009890: DD348100 0008BD06
	global_atomic_add_f32 v6, v193, s[8:9] offset:512          // 000000009898: DD348200 0008C106
	global_atomic_add_f32 v6, v197, s[8:9] offset:768          // 0000000098A0: DD348300 0008C506
	global_atomic_add_f32 v6, v201, s[8:9] offset:1024         // 0000000098A8: DD348400 0008C906
	global_atomic_add_f32 v6, v205, s[8:9] offset:1280         // 0000000098B0: DD348500 0008CD06
	global_atomic_add_f32 v6, v209, s[8:9] offset:1536         // 0000000098B8: DD348600 0008D106
	global_atomic_add_f32 v6, v213, s[8:9] offset:1792         // 0000000098C0: DD348700 0008D506
	s_mov_b64 exec, s[36:37]                                   // 0000000098C8: BEFE0124
	v_mov_b32_e32 v6, v44                                      // 0000000098CC: 7E0C032C
	s_mov_b64 s[60:61], 0                                      // 0000000098D0: BEBC0180
	v_readlane_b32 s82, v3, 8                                  // 0000000098D4: D2890052 00011103
	s_and_b32 s82, s82, 0xffffff                               // 0000000098DC: 8652FF52 00FFFFFF
	s_cmp_lt_u32 s82, s66                                      // 0000000098E4: BF0A4252
	s_cselect_b32 s20, s36, s60                                // 0000000098E8: 85143C24
	v_readlane_b32 s82, v3, 9                                  // 0000000098EC: D2890052 00011303
	s_and_b32 s82, s82, 0xffffff                               // 0000000098F4: 8652FF52 00FFFFFF
	s_cmp_lt_u32 s82, s66                                      // 0000000098FC: BF0A4252
	s_cselect_b32 s21, s36, s60                                // 000000009900: 85153C24
	s_mov_b64 exec, s[20:21]                                   // 000000009904: BEFE0114
	global_atomic_add_f32 v6, v216, s[8:9]                     // 000000009908: DD348000 0008D806
	global_atomic_add_f32 v6, v220, s[8:9] offset:256          // 000000009910: DD348100 0008DC06
	global_atomic_add_f32 v6, v224, s[8:9] offset:512          // 000000009918: DD348200 0008E006
	global_atomic_add_f32 v6, v228, s[8:9] offset:768          // 000000009920: DD348300 0008E406
	global_atomic_add_f32 v6, v232, s[8:9] offset:1024         // 000000009928: DD348400 0008E806
	global_atomic_add_f32 v6, v236, s[8:9] offset:1280         // 000000009930: DD348500 0008EC06
	global_atomic_add_f32 v6, v240, s[8:9] offset:1536         // 000000009938: DD348600 0008F006
	global_atomic_add_f32 v6, v244, s[8:9] offset:1792         // 000000009940: DD348700 0008F406
	s_mov_b64 exec, s[36:37]                                   // 000000009948: BEFE0124
	v_mov_b32_e32 v6, v45                                      // 00000000994C: 7E0C032D
	s_mov_b64 s[60:61], 0                                      // 000000009950: BEBC0180
	v_readlane_b32 s82, v3, 10                                 // 000000009954: D2890052 00011503
	s_and_b32 s82, s82, 0xffffff                               // 00000000995C: 8652FF52 00FFFFFF
	s_cmp_lt_u32 s82, s66                                      // 000000009964: BF0A4252
	s_cselect_b32 s20, s36, s60                                // 000000009968: 85143C24
	v_readlane_b32 s82, v3, 11                                 // 00000000996C: D2890052 00011703
	s_and_b32 s82, s82, 0xffffff                               // 000000009974: 8652FF52 00FFFFFF
	s_cmp_lt_u32 s82, s66                                      // 00000000997C: BF0A4252
	s_cselect_b32 s21, s36, s60                                // 000000009980: 85153C24
	s_mov_b64 exec, s[20:21]                                   // 000000009984: BEFE0114
	global_atomic_add_f32 v6, v217, s[8:9]                     // 000000009988: DD348000 0008D906
	global_atomic_add_f32 v6, v221, s[8:9] offset:256          // 000000009990: DD348100 0008DD06
	global_atomic_add_f32 v6, v225, s[8:9] offset:512          // 000000009998: DD348200 0008E106
	global_atomic_add_f32 v6, v229, s[8:9] offset:768          // 0000000099A0: DD348300 0008E506
	global_atomic_add_f32 v6, v233, s[8:9] offset:1024         // 0000000099A8: DD348400 0008E906
	global_atomic_add_f32 v6, v237, s[8:9] offset:1280         // 0000000099B0: DD348500 0008ED06
	global_atomic_add_f32 v6, v241, s[8:9] offset:1536         // 0000000099B8: DD348600 0008F106
	global_atomic_add_f32 v6, v245, s[8:9] offset:1792         // 0000000099C0: DD348700 0008F506
	s_mov_b64 exec, s[36:37]                                   // 0000000099C8: BEFE0124
	ds_write_b64 v20, v[154:155]                               // 0000000099CC: D89A0000 00009A14
	ds_write_b64 v20, v[158:159] offset:17408                  // 0000000099D4: D89A4400 00009E14
	ds_write_b64 v20, v[162:163] offset:34816                  // 0000000099DC: D89A8800 0000A214
	ds_write_b64 v20, v[166:167] offset:2176                   // 0000000099E4: D89A0880 0000A614
	ds_write_b64 v20, v[170:171] offset:19584                  // 0000000099EC: D89A4C80 0000AA14
	ds_write_b64 v20, v[174:175] offset:36992                  // 0000000099F4: D89A9080 0000AE14
	ds_write_b64 v20, v[178:179] offset:4352                   // 0000000099FC: D89A1100 0000B214
	ds_write_b64 v20, v[182:183] offset:21760                  // 000000009A04: D89A5500 0000B614
	ds_write_b64 v20, v[186:187] offset:39168                  // 000000009A0C: D89A9900 0000BA14
	ds_write_b64 v20, v[190:191] offset:6528                   // 000000009A14: D89A1980 0000BE14
	ds_write_b64 v20, v[194:195] offset:23936                  // 000000009A1C: D89A5D80 0000C214
	ds_write_b64 v20, v[198:199] offset:41344                  // 000000009A24: D89AA180 0000C614
	ds_write_b64 v20, v[202:203] offset:8704                   // 000000009A2C: D89A2200 0000CA14
	ds_write_b64 v20, v[206:207] offset:26112                  // 000000009A34: D89A6600 0000CE14
	ds_write_b64 v20, v[210:211] offset:43520                  // 000000009A3C: D89AAA00 0000D214
	ds_write_b64 v20, v[214:215] offset:10880                  // 000000009A44: D89A2A80 0000D614
	ds_write_b64 v20, v[218:219] offset:28288                  // 000000009A4C: D89A6E80 0000DA14
	ds_write_b64 v20, v[222:223] offset:45696                  // 000000009A54: D89AB280 0000DE14
	ds_write_b64 v20, v[226:227] offset:13056                  // 000000009A5C: D89A3300 0000E214
	ds_write_b64 v20, v[230:231] offset:30464                  // 000000009A64: D89A7700 0000E614
	ds_write_b64 v20, v[234:235] offset:47872                  // 000000009A6C: D89ABB00 0000EA14
	ds_write_b64 v20, v[238:239] offset:15232                  // 000000009A74: D89A3B80 0000EE14
	ds_write_b64 v20, v[242:243] offset:32640                  // 000000009A7C: D89A7F80 0000F214
	ds_write_b64 v20, v[246:247] offset:50048                  // 000000009A84: D89AC380 0000F614
	s_waitcnt lgkmcnt(0)                                       // 000000009A8C: BF8CC07F
	s_barrier                                                  // 000000009A90: BF8A0000
	ds_read_b32 v154, v21                                      // 000000009A94: D86C0000 9A000015
	ds_read_b32 v155, v21 offset:64                            // 000000009A9C: D86C0040 9B000015
	ds_read_b32 v158, v21 offset:2176                          // 000000009AA4: D86C0880 9E000015
	ds_read_b32 v159, v21 offset:2240                          // 000000009AAC: D86C08C0 9F000015
	ds_read_b32 v162, v21 offset:4352                          // 000000009AB4: D86C1100 A2000015
	ds_read_b32 v163, v21 offset:4416                          // 000000009ABC: D86C1140 A3000015
	ds_read_b32 v166, v21 offset:6528                          // 000000009AC4: D86C1980 A6000015
	ds_read_b32 v167, v21 offset:6592                          // 000000009ACC: D86C19C0 A7000015
	ds_read_b32 v170, v21 offset:8704                          // 000000009AD4: D86C2200 AA000015
	ds_read_b32 v171, v21 offset:8768                          // 000000009ADC: D86C2240 AB000015
	ds_read_b32 v174, v21 offset:10880                         // 000000009AE4: D86C2A80 AE000015
	ds_read_b32 v175, v21 offset:10944                         // 000000009AEC: D86C2AC0 AF000015
	ds_read_b32 v178, v21 offset:13056                         // 000000009AF4: D86C3300 B2000015
	ds_read_b32 v179, v21 offset:13120                         // 000000009AFC: D86C3340 B3000015
	ds_read_b32 v182, v21 offset:15232                         // 000000009B04: D86C3B80 B6000015
	ds_read_b32 v183, v21 offset:15296                         // 000000009B0C: D86C3BC0 B7000015
	ds_read_b32 v186, v21 offset:17408                         // 000000009B14: D86C4400 BA000015
	ds_read_b32 v187, v21 offset:17472                         // 000000009B1C: D86C4440 BB000015
	ds_read_b32 v190, v21 offset:19584                         // 000000009B24: D86C4C80 BE000015
	ds_read_b32 v191, v21 offset:19648                         // 000000009B2C: D86C4CC0 BF000015
	ds_read_b32 v194, v21 offset:21760                         // 000000009B34: D86C5500 C2000015
	ds_read_b32 v195, v21 offset:21824                         // 000000009B3C: D86C5540 C3000015
	ds_read_b32 v198, v21 offset:23936                         // 000000009B44: D86C5D80 C6000015
	ds_read_b32 v199, v21 offset:24000                         // 000000009B4C: D86C5DC0 C7000015
	ds_read_b32 v202, v21 offset:26112                         // 000000009B54: D86C6600 CA000015
	ds_read_b32 v203, v21 offset:26176                         // 000000009B5C: D86C6640 CB000015
	ds_read_b32 v206, v21 offset:28288                         // 000000009B64: D86C6E80 CE000015
	ds_read_b32 v207, v21 offset:28352                         // 000000009B6C: D86C6EC0 CF000015
	ds_read_b32 v210, v21 offset:30464                         // 000000009B74: D86C7700 D2000015
	ds_read_b32 v211, v21 offset:30528                         // 000000009B7C: D86C7740 D3000015
	ds_read_b32 v214, v21 offset:32640                         // 000000009B84: D86C7F80 D6000015
	ds_read_b32 v215, v21 offset:32704                         // 000000009B8C: D86C7FC0 D7000015
	ds_read_b32 v218, v21 offset:34816                         // 000000009B94: D86C8800 DA000015
	ds_read_b32 v219, v21 offset:34880                         // 000000009B9C: D86C8840 DB000015
	ds_read_b32 v222, v21 offset:36992                         // 000000009BA4: D86C9080 DE000015
	ds_read_b32 v223, v21 offset:37056                         // 000000009BAC: D86C90C0 DF000015
	ds_read_b32 v226, v21 offset:39168                         // 000000009BB4: D86C9900 E2000015
	ds_read_b32 v227, v21 offset:39232                         // 000000009BBC: D86C9940 E3000015
	ds_read_b32 v230, v21 offset:41344                         // 000000009BC4: D86CA180 E6000015
	ds_read_b32 v231, v21 offset:41408                         // 000000009BCC: D86CA1C0 E7000015
	ds_read_b32 v234, v21 offset:43520                         // 000000009BD4: D86CAA00 EA000015
	ds_read_b32 v235, v21 offset:43584                         // 000000009BDC: D86CAA40 EB000015
	ds_read_b32 v238, v21 offset:45696                         // 000000009BE4: D86CB280 EE000015
	ds_read_b32 v239, v21 offset:45760                         // 000000009BEC: D86CB2C0 EF000015
	ds_read_b32 v242, v21 offset:47872                         // 000000009BF4: D86CBB00 F2000015
	ds_read_b32 v243, v21 offset:47936                         // 000000009BFC: D86CBB40 F3000015
	ds_read_b32 v246, v21 offset:50048                         // 000000009C04: D86CC380 F6000015
	ds_read_b32 v247, v21 offset:50112                         // 000000009C0C: D86CC3C0 F7000015
	s_waitcnt lgkmcnt(0)                                       // 000000009C14: BF8CC07F
	v_mov_b32_e32 v7, 0                                        // 000000009C18: 7E0E0280
	s_mov_b64 exec, s[36:37]                                   // 000000009C1C: BEFE0124
	v_mov_b32_e32 v6, v40                                      // 000000009C20: 7E0C0328
	s_mov_b64 s[60:61], 0                                      // 000000009C24: BEBC0180
	v_readlane_b32 s82, v3, 0                                  // 000000009C28: D2890052 00010103
	s_and_b32 s82, s82, 0xffffff                               // 000000009C30: 8652FF52 00FFFFFF
	s_cmp_lt_u32 s82, s66                                      // 000000009C38: BF0A4252
	s_cselect_b32 s20, s36, s60                                // 000000009C3C: 85143C24
	v_readlane_b32 s82, v3, 1                                  // 000000009C40: D2890052 00010303
	s_and_b32 s82, s82, 0xffffff                               // 000000009C48: 8652FF52 00FFFFFF
	s_cmp_lt_u32 s82, s66                                      // 000000009C50: BF0A4252
	s_cselect_b32 s21, s36, s60                                // 000000009C54: 85153C24
	s_mov_b64 exec, s[20:21]                                   // 000000009C58: BEFE0114
	global_atomic_add_f32 v6, v154, s[8:9] offset:8            // 000000009C5C: DD348008 00089A06
	global_atomic_add_f32 v6, v158, s[8:9] offset:264          // 000000009C64: DD348108 00089E06
	global_atomic_add_f32 v6, v162, s[8:9] offset:520          // 000000009C6C: DD348208 0008A206
	global_atomic_add_f32 v6, v166, s[8:9] offset:776          // 000000009C74: DD348308 0008A606
	global_atomic_add_f32 v6, v170, s[8:9] offset:1032         // 000000009C7C: DD348408 0008AA06
	global_atomic_add_f32 v6, v174, s[8:9] offset:1288         // 000000009C84: DD348508 0008AE06
	global_atomic_add_f32 v6, v178, s[8:9] offset:1544         // 000000009C8C: DD348608 0008B206
	global_atomic_add_f32 v6, v182, s[8:9] offset:1800         // 000000009C94: DD348708 0008B606
	s_mov_b64 exec, s[36:37]                                   // 000000009C9C: BEFE0124
	v_mov_b32_e32 v6, v41                                      // 000000009CA0: 7E0C0329
	s_mov_b64 s[60:61], 0                                      // 000000009CA4: BEBC0180
	v_readlane_b32 s82, v3, 2                                  // 000000009CA8: D2890052 00010503
	s_and_b32 s82, s82, 0xffffff                               // 000000009CB0: 8652FF52 00FFFFFF
	s_cmp_lt_u32 s82, s66                                      // 000000009CB8: BF0A4252
	s_cselect_b32 s20, s36, s60                                // 000000009CBC: 85143C24
	v_readlane_b32 s82, v3, 3                                  // 000000009CC0: D2890052 00010703
	s_and_b32 s82, s82, 0xffffff                               // 000000009CC8: 8652FF52 00FFFFFF
	s_cmp_lt_u32 s82, s66                                      // 000000009CD0: BF0A4252
	s_cselect_b32 s21, s36, s60                                // 000000009CD4: 85153C24
	s_mov_b64 exec, s[20:21]                                   // 000000009CD8: BEFE0114
	global_atomic_add_f32 v6, v155, s[8:9] offset:8            // 000000009CDC: DD348008 00089B06
	global_atomic_add_f32 v6, v159, s[8:9] offset:264          // 000000009CE4: DD348108 00089F06
	global_atomic_add_f32 v6, v163, s[8:9] offset:520          // 000000009CEC: DD348208 0008A306
	global_atomic_add_f32 v6, v167, s[8:9] offset:776          // 000000009CF4: DD348308 0008A706
	global_atomic_add_f32 v6, v171, s[8:9] offset:1032         // 000000009CFC: DD348408 0008AB06
	global_atomic_add_f32 v6, v175, s[8:9] offset:1288         // 000000009D04: DD348508 0008AF06
	global_atomic_add_f32 v6, v179, s[8:9] offset:1544         // 000000009D0C: DD348608 0008B306
	global_atomic_add_f32 v6, v183, s[8:9] offset:1800         // 000000009D14: DD348708 0008B706
	s_mov_b64 exec, s[36:37]                                   // 000000009D1C: BEFE0124
	v_mov_b32_e32 v6, v42                                      // 000000009D20: 7E0C032A
	s_mov_b64 s[60:61], 0                                      // 000000009D24: BEBC0180
	v_readlane_b32 s82, v3, 4                                  // 000000009D28: D2890052 00010903
	s_and_b32 s82, s82, 0xffffff                               // 000000009D30: 8652FF52 00FFFFFF
	s_cmp_lt_u32 s82, s66                                      // 000000009D38: BF0A4252
	s_cselect_b32 s20, s36, s60                                // 000000009D3C: 85143C24
	v_readlane_b32 s82, v3, 5                                  // 000000009D40: D2890052 00010B03
	s_and_b32 s82, s82, 0xffffff                               // 000000009D48: 8652FF52 00FFFFFF
	s_cmp_lt_u32 s82, s66                                      // 000000009D50: BF0A4252
	s_cselect_b32 s21, s36, s60                                // 000000009D54: 85153C24
	s_mov_b64 exec, s[20:21]                                   // 000000009D58: BEFE0114
	global_atomic_add_f32 v6, v186, s[8:9] offset:8            // 000000009D5C: DD348008 0008BA06
	global_atomic_add_f32 v6, v190, s[8:9] offset:264          // 000000009D64: DD348108 0008BE06
	global_atomic_add_f32 v6, v194, s[8:9] offset:520          // 000000009D6C: DD348208 0008C206
	global_atomic_add_f32 v6, v198, s[8:9] offset:776          // 000000009D74: DD348308 0008C606
	global_atomic_add_f32 v6, v202, s[8:9] offset:1032         // 000000009D7C: DD348408 0008CA06
	global_atomic_add_f32 v6, v206, s[8:9] offset:1288         // 000000009D84: DD348508 0008CE06
	global_atomic_add_f32 v6, v210, s[8:9] offset:1544         // 000000009D8C: DD348608 0008D206
	global_atomic_add_f32 v6, v214, s[8:9] offset:1800         // 000000009D94: DD348708 0008D606
	s_mov_b64 exec, s[36:37]                                   // 000000009D9C: BEFE0124
	v_mov_b32_e32 v6, v43                                      // 000000009DA0: 7E0C032B
	s_mov_b64 s[60:61], 0                                      // 000000009DA4: BEBC0180
	v_readlane_b32 s82, v3, 6                                  // 000000009DA8: D2890052 00010D03
	s_and_b32 s82, s82, 0xffffff                               // 000000009DB0: 8652FF52 00FFFFFF
	s_cmp_lt_u32 s82, s66                                      // 000000009DB8: BF0A4252
	s_cselect_b32 s20, s36, s60                                // 000000009DBC: 85143C24
	v_readlane_b32 s82, v3, 7                                  // 000000009DC0: D2890052 00010F03
	s_and_b32 s82, s82, 0xffffff                               // 000000009DC8: 8652FF52 00FFFFFF
	s_cmp_lt_u32 s82, s66                                      // 000000009DD0: BF0A4252
	s_cselect_b32 s21, s36, s60                                // 000000009DD4: 85153C24
	s_mov_b64 exec, s[20:21]                                   // 000000009DD8: BEFE0114
	global_atomic_add_f32 v6, v187, s[8:9] offset:8            // 000000009DDC: DD348008 0008BB06
	global_atomic_add_f32 v6, v191, s[8:9] offset:264          // 000000009DE4: DD348108 0008BF06
	global_atomic_add_f32 v6, v195, s[8:9] offset:520          // 000000009DEC: DD348208 0008C306
	global_atomic_add_f32 v6, v199, s[8:9] offset:776          // 000000009DF4: DD348308 0008C706
	global_atomic_add_f32 v6, v203, s[8:9] offset:1032         // 000000009DFC: DD348408 0008CB06
	global_atomic_add_f32 v6, v207, s[8:9] offset:1288         // 000000009E04: DD348508 0008CF06
	global_atomic_add_f32 v6, v211, s[8:9] offset:1544         // 000000009E0C: DD348608 0008D306
	global_atomic_add_f32 v6, v215, s[8:9] offset:1800         // 000000009E14: DD348708 0008D706
	s_mov_b64 exec, s[36:37]                                   // 000000009E1C: BEFE0124
	v_mov_b32_e32 v6, v44                                      // 000000009E20: 7E0C032C
	s_mov_b64 s[60:61], 0                                      // 000000009E24: BEBC0180
	v_readlane_b32 s82, v3, 8                                  // 000000009E28: D2890052 00011103
	s_and_b32 s82, s82, 0xffffff                               // 000000009E30: 8652FF52 00FFFFFF
	s_cmp_lt_u32 s82, s66                                      // 000000009E38: BF0A4252
	s_cselect_b32 s20, s36, s60                                // 000000009E3C: 85143C24
	v_readlane_b32 s82, v3, 9                                  // 000000009E40: D2890052 00011303
	s_and_b32 s82, s82, 0xffffff                               // 000000009E48: 8652FF52 00FFFFFF
	s_cmp_lt_u32 s82, s66                                      // 000000009E50: BF0A4252
	s_cselect_b32 s21, s36, s60                                // 000000009E54: 85153C24
	s_mov_b64 exec, s[20:21]                                   // 000000009E58: BEFE0114
	global_atomic_add_f32 v6, v218, s[8:9] offset:8            // 000000009E5C: DD348008 0008DA06
	global_atomic_add_f32 v6, v222, s[8:9] offset:264          // 000000009E64: DD348108 0008DE06
	global_atomic_add_f32 v6, v226, s[8:9] offset:520          // 000000009E6C: DD348208 0008E206
	global_atomic_add_f32 v6, v230, s[8:9] offset:776          // 000000009E74: DD348308 0008E606
	global_atomic_add_f32 v6, v234, s[8:9] offset:1032         // 000000009E7C: DD348408 0008EA06
	global_atomic_add_f32 v6, v238, s[8:9] offset:1288         // 000000009E84: DD348508 0008EE06
	global_atomic_add_f32 v6, v242, s[8:9] offset:1544         // 000000009E8C: DD348608 0008F206
	global_atomic_add_f32 v6, v246, s[8:9] offset:1800         // 000000009E94: DD348708 0008F606
	s_mov_b64 exec, s[36:37]                                   // 000000009E9C: BEFE0124
	v_mov_b32_e32 v6, v45                                      // 000000009EA0: 7E0C032D
	s_mov_b64 s[60:61], 0                                      // 000000009EA4: BEBC0180
	v_readlane_b32 s82, v3, 10                                 // 000000009EA8: D2890052 00011503
	s_and_b32 s82, s82, 0xffffff                               // 000000009EB0: 8652FF52 00FFFFFF
	s_cmp_lt_u32 s82, s66                                      // 000000009EB8: BF0A4252
	s_cselect_b32 s20, s36, s60                                // 000000009EBC: 85143C24
	v_readlane_b32 s82, v3, 11                                 // 000000009EC0: D2890052 00011703
	s_and_b32 s82, s82, 0xffffff                               // 000000009EC8: 8652FF52 00FFFFFF
	s_cmp_lt_u32 s82, s66                                      // 000000009ED0: BF0A4252
	s_cselect_b32 s21, s36, s60                                // 000000009ED4: 85153C24
	s_mov_b64 exec, s[20:21]                                   // 000000009ED8: BEFE0114
	global_atomic_add_f32 v6, v219, s[8:9] offset:8            // 000000009EDC: DD348008 0008DB06
	global_atomic_add_f32 v6, v223, s[8:9] offset:264          // 000000009EE4: DD348108 0008DF06
	global_atomic_add_f32 v6, v227, s[8:9] offset:520          // 000000009EEC: DD348208 0008E306
	global_atomic_add_f32 v6, v231, s[8:9] offset:776          // 000000009EF4: DD348308 0008E706
	global_atomic_add_f32 v6, v235, s[8:9] offset:1032         // 000000009EFC: DD348408 0008EB06
	global_atomic_add_f32 v6, v239, s[8:9] offset:1288         // 000000009F04: DD348508 0008EF06
	global_atomic_add_f32 v6, v243, s[8:9] offset:1544         // 000000009F0C: DD348608 0008F306
	global_atomic_add_f32 v6, v247, s[8:9] offset:1800         // 000000009F14: DD348708 0008F706
	s_mov_b64 exec, s[36:37]                                   // 000000009F1C: BEFE0124
	s_branch label_37C6                                        // 000000009F20: BF821A7A

0000000000009f24 <label_1D4C>:
	s_waitcnt vmcnt(14) lgkmcnt(0)                             // 000000009F24: BF8C007E
	s_barrier                                                  // 000000009F28: BF8A0000
	v_mov_b32_e32 v37, v31                                     // 000000009F2C: 7E4A031F
	v_mov_b32_e32 v38, v32                                     // 000000009F30: 7E4C0320
	v_mov_b32_e32 v39, v33                                     // 000000009F34: 7E4E0321
	v_mul_f32_dpp v4, v24, v37 row_newbcast:0 row_mask:0xf bank_mask:0xf// 000000009F38: 0A084AFA FF015018
	v_mfma_f32_16x16x32_fp8_fp8 v[8:11], a[48:49], a[0:1], 0   // 000000009F40: D3F30008 1A020130
	buffer_load_dword v27, v23, s[32:35], 0 offen              // 000000009F48: E0501000 80081B17
	buffer_load_dwordx4 a[112:115], v46, s[84:87], 0 offen     // 000000009F50: E05C1000 8095702E
	v_mfma_f32_16x16x32_fp8_fp8 v[8:11], a[50:51], a[2:3], v[8:11]// 000000009F58: D3F30008 1C220532
	v_mfma_f32_16x16x32_fp8_fp8 v[8:11], a[52:53], a[4:5], v[8:11]// 000000009F60: D3F30008 1C220934
	v_mfma_f32_16x16x32_fp8_fp8 v[8:11], a[54:55], a[6:7], v[8:11]// 000000009F68: D3F30008 1C220D36
	v_mul_f32_dpp v6, v24, v38 row_newbcast:0 row_mask:0xf bank_mask:0xf// 000000009F70: 0A0C4CFA FF015018
	v_mfma_f32_16x16x32_fp8_fp8 v[12:15], a[48:49], a[8:9], 0  // 000000009F78: D3F3000C 1A021130
	buffer_load_dwordx4 a[116:119], v46, s[84:87], 0 offen offset:1024// 000000009F80: E05C1400 8095742E
	v_mfma_f32_16x16x32_fp8_fp8 v[12:15], a[50:51], a[10:11], v[12:15]// 000000009F88: D3F3000C 1C321532
	v_mfma_f32_16x16x32_fp8_fp8 v[12:15], a[52:53], a[12:13], v[12:15]// 000000009F90: D3F3000C 1C321934
	v_mfma_f32_16x16x32_fp8_fp8 v[12:15], a[54:55], a[14:15], v[12:15]// 000000009F98: D3F3000C 1C321D36
	v_fma_f32 v56, v8, v4, v56                                 // 000000009FA0: D1CB0038 04E20908
	v_fma_f32 v57, v9, v4, v57                                 // 000000009FA8: D1CB0039 04E60909
	v_fma_f32 v58, v10, v4, v58                                // 000000009FB0: D1CB003A 04EA090A
	v_fma_f32 v59, v11, v4, v59                                // 000000009FB8: D1CB003B 04EE090B
	v_mul_f32_dpp v4, v24, v39 row_newbcast:0 row_mask:0xf bank_mask:0xf// 000000009FC0: 0A084EFA FF015018
	v_mfma_f32_16x16x32_fp8_fp8 v[8:11], a[48:49], a[16:17], 0 // 000000009FC8: D3F30008 1A022130
	buffer_load_dwordx4 a[120:123], v47, s[84:87], 0 offen     // 000000009FD0: E05C1000 8095782F
	v_mfma_f32_16x16x32_fp8_fp8 v[8:11], a[50:51], a[18:19], v[8:11]// 000000009FD8: D3F30008 1C222532
	v_mfma_f32_16x16x32_fp8_fp8 v[8:11], a[52:53], a[20:21], v[8:11]// 000000009FE0: D3F30008 1C222934
	v_mfma_f32_16x16x32_fp8_fp8 v[8:11], a[54:55], a[22:23], v[8:11]// 000000009FE8: D3F30008 1C222D36
	v_fma_f32 v60, v12, v6, v60                                // 000000009FF0: D1CB003C 04F20D0C
	v_fma_f32 v61, v13, v6, v61                                // 000000009FF8: D1CB003D 04F60D0D
	v_fma_f32 v62, v14, v6, v62                                // 00000000A000: D1CB003E 04FA0D0E
	v_fma_f32 v63, v15, v6, v63                                // 00000000A008: D1CB003F 04FE0D0F
	s_waitcnt vmcnt(16)                                        // 00000000A010: BF8C4F70
	v_mul_f32_dpp v6, v24, v37 row_newbcast:0 row_mask:0xf bank_mask:0xf// 00000000A014: 0A0C4AFA FF015018
	v_mfma_f32_16x16x32_fp8_fp8 v[12:15], a[56:57], a[0:1], 0  // 00000000A01C: D3F3000C 1A020138
	buffer_load_dwordx4 a[124:127], v47, s[84:87], 0 offen offset:1024// 00000000A024: E05C1400 80957C2F
	v_mfma_f32_16x16x32_fp8_fp8 v[12:15], a[58:59], a[2:3], v[12:15]// 00000000A02C: D3F3000C 1C32053A
	v_mfma_f32_16x16x32_fp8_fp8 v[12:15], a[60:61], a[4:5], v[12:15]// 00000000A034: D3F3000C 1C32093C
	v_mfma_f32_16x16x32_fp8_fp8 v[12:15], a[62:63], a[6:7], v[12:15]// 00000000A03C: D3F3000C 1C320D3E
	v_fma_f32 v64, v8, v4, v64                                 // 00000000A044: D1CB0040 05020908
	v_fma_f32 v65, v9, v4, v65                                 // 00000000A04C: D1CB0041 05060909
	v_fma_f32 v66, v10, v4, v66                                // 00000000A054: D1CB0042 050A090A
	v_fma_f32 v67, v11, v4, v67                                // 00000000A05C: D1CB0043 050E090B
	v_mul_f32_dpp v4, v24, v38 row_newbcast:0 row_mask:0xf bank_mask:0xf// 00000000A064: 0A084CFA FF015018
	v_mfma_f32_16x16x32_fp8_fp8 v[8:11], a[56:57], a[8:9], 0   // 00000000A06C: D3F30008 1A021138
	buffer_load_dwordx4 a[128:131], v48, s[84:87], 0 offen     // 00000000A074: E05C1000 80958030
	v_mfma_f32_16x16x32_fp8_fp8 v[8:11], a[58:59], a[10:11], v[8:11]// 00000000A07C: D3F30008 1C22153A
	v_mfma_f32_16x16x32_fp8_fp8 v[8:11], a[60:61], a[12:13], v[8:11]// 00000000A084: D3F30008 1C22193C
	v_mfma_f32_16x16x32_fp8_fp8 v[8:11], a[62:63], a[14:15], v[8:11]// 00000000A08C: D3F30008 1C221D3E
	v_fma_f32 v68, v12, v6, v68                                // 00000000A094: D1CB0044 05120D0C
	v_fma_f32 v69, v13, v6, v69                                // 00000000A09C: D1CB0045 05160D0D
	v_fma_f32 v70, v14, v6, v70                                // 00000000A0A4: D1CB0046 051A0D0E
	v_fma_f32 v71, v15, v6, v71                                // 00000000A0AC: D1CB0047 051E0D0F
	v_mul_f32_dpp v6, v24, v39 row_newbcast:0 row_mask:0xf bank_mask:0xf// 00000000A0B4: 0A0C4EFA FF015018
	v_mfma_f32_16x16x32_fp8_fp8 v[12:15], a[56:57], a[16:17], 0// 00000000A0BC: D3F3000C 1A022138
	buffer_load_dwordx4 a[132:135], v48, s[84:87], 0 offen offset:1024// 00000000A0C4: E05C1400 80958430
	v_mfma_f32_16x16x32_fp8_fp8 v[12:15], a[58:59], a[18:19], v[12:15]// 00000000A0CC: D3F3000C 1C32253A
	v_mfma_f32_16x16x32_fp8_fp8 v[12:15], a[60:61], a[20:21], v[12:15]// 00000000A0D4: D3F3000C 1C32293C
	v_mfma_f32_16x16x32_fp8_fp8 v[12:15], a[62:63], a[22:23], v[12:15]// 00000000A0DC: D3F3000C 1C322D3E
	v_fma_f32 v72, v8, v4, v72                                 // 00000000A0E4: D1CB0048 05220908
	v_fma_f32 v73, v9, v4, v73                                 // 00000000A0EC: D1CB0049 05260909
	v_fma_f32 v74, v10, v4, v74                                // 00000000A0F4: D1CB004A 052A090A
	v_fma_f32 v75, v11, v4, v75                                // 00000000A0FC: D1CB004B 052E090B
	s_waitcnt vmcnt(17)                                        // 00000000A104: BF8C4F71
	v_mul_f32_dpp v4, v24, v37 row_newbcast:1 row_mask:0xf bank_mask:0xf// 00000000A108: 0A084AFA FF015118
	v_mfma_f32_16x16x32_fp8_fp8 v[8:11], a[64:65], a[0:1], 0   // 00000000A110: D3F30008 1A020140
	buffer_load_dwordx4 a[136:139], v49, s[84:87], 0 offen     // 00000000A118: E05C1000 80958831
	v_mfma_f32_16x16x32_fp8_fp8 v[8:11], a[66:67], a[2:3], v[8:11]// 00000000A120: D3F30008 1C220542
	v_mfma_f32_16x16x32_fp8_fp8 v[8:11], a[68:69], a[4:5], v[8:11]// 00000000A128: D3F30008 1C220944
	v_mfma_f32_16x16x32_fp8_fp8 v[8:11], a[70:71], a[6:7], v[8:11]// 00000000A130: D3F30008 1C220D46
	v_fma_f32 v76, v12, v6, v76                                // 00000000A138: D1CB004C 05320D0C
	v_fma_f32 v77, v13, v6, v77                                // 00000000A140: D1CB004D 05360D0D
	v_fma_f32 v78, v14, v6, v78                                // 00000000A148: D1CB004E 053A0D0E
	v_fma_f32 v79, v15, v6, v79                                // 00000000A150: D1CB004F 053E0D0F
	v_mul_f32_dpp v6, v24, v38 row_newbcast:1 row_mask:0xf bank_mask:0xf// 00000000A158: 0A0C4CFA FF015118
	v_mfma_f32_16x16x32_fp8_fp8 v[12:15], a[64:65], a[8:9], 0  // 00000000A160: D3F3000C 1A021140
	buffer_load_dwordx4 a[140:143], v49, s[84:87], 0 offen offset:1024// 00000000A168: E05C1400 80958C31
	v_mfma_f32_16x16x32_fp8_fp8 v[12:15], a[66:67], a[10:11], v[12:15]// 00000000A170: D3F3000C 1C321542
	v_mfma_f32_16x16x32_fp8_fp8 v[12:15], a[68:69], a[12:13], v[12:15]// 00000000A178: D3F3000C 1C321944
	v_mfma_f32_16x16x32_fp8_fp8 v[12:15], a[70:71], a[14:15], v[12:15]// 00000000A180: D3F3000C 1C321D46
	v_fma_f32 v80, v8, v4, v80                                 // 00000000A188: D1CB0050 05420908
	v_fma_f32 v81, v9, v4, v81                                 // 00000000A190: D1CB0051 05460909
	v_fma_f32 v82, v10, v4, v82                                // 00000000A198: D1CB0052 054A090A
	v_fma_f32 v83, v11, v4, v83                                // 00000000A1A0: D1CB0053 054E090B
	v_mul_f32_dpp v4, v24, v39 row_newbcast:1 row_mask:0xf bank_mask:0xf// 00000000A1A8: 0A084EFA FF015118
	v_mfma_f32_16x16x32_fp8_fp8 v[8:11], a[64:65], a[16:17], 0 // 00000000A1B0: D3F30008 1A022140
	buffer_load_dwordx4 a[144:147], v50, s[84:87], 0 offen     // 00000000A1B8: E05C1000 80959032
	v_mfma_f32_16x16x32_fp8_fp8 v[8:11], a[66:67], a[18:19], v[8:11]// 00000000A1C0: D3F30008 1C222542
	v_mfma_f32_16x16x32_fp8_fp8 v[8:11], a[68:69], a[20:21], v[8:11]// 00000000A1C8: D3F30008 1C222944
	v_mfma_f32_16x16x32_fp8_fp8 v[8:11], a[70:71], a[22:23], v[8:11]// 00000000A1D0: D3F30008 1C222D46
	v_fma_f32 v84, v12, v6, v84                                // 00000000A1D8: D1CB0054 05520D0C
	v_fma_f32 v85, v13, v6, v85                                // 00000000A1E0: D1CB0055 05560D0D
	v_fma_f32 v86, v14, v6, v86                                // 00000000A1E8: D1CB0056 055A0D0E
	v_fma_f32 v87, v15, v6, v87                                // 00000000A1F0: D1CB0057 055E0D0F
	s_waitcnt vmcnt(18)                                        // 00000000A1F8: BF8C4F72
	v_mul_f32_dpp v6, v24, v37 row_newbcast:1 row_mask:0xf bank_mask:0xf// 00000000A1FC: 0A0C4AFA FF015118
	v_mfma_f32_16x16x32_fp8_fp8 v[12:15], a[72:73], a[0:1], 0  // 00000000A204: D3F3000C 1A020148
	buffer_load_dwordx4 a[148:151], v50, s[84:87], 0 offen offset:1024// 00000000A20C: E05C1400 80959432
	v_mfma_f32_16x16x32_fp8_fp8 v[12:15], a[74:75], a[2:3], v[12:15]// 00000000A214: D3F3000C 1C32054A
	v_mfma_f32_16x16x32_fp8_fp8 v[12:15], a[76:77], a[4:5], v[12:15]// 00000000A21C: D3F3000C 1C32094C
	v_mfma_f32_16x16x32_fp8_fp8 v[12:15], a[78:79], a[6:7], v[12:15]// 00000000A224: D3F3000C 1C320D4E
	v_fma_f32 v88, v8, v4, v88                                 // 00000000A22C: D1CB0058 05620908
	v_fma_f32 v89, v9, v4, v89                                 // 00000000A234: D1CB0059 05660909
	v_fma_f32 v90, v10, v4, v90                                // 00000000A23C: D1CB005A 056A090A
	v_fma_f32 v91, v11, v4, v91                                // 00000000A244: D1CB005B 056E090B
	v_mul_f32_dpp v4, v24, v38 row_newbcast:1 row_mask:0xf bank_mask:0xf// 00000000A24C: 0A084CFA FF015118
	v_mfma_f32_16x16x32_fp8_fp8 v[8:11], a[72:73], a[8:9], 0   // 00000000A254: D3F30008 1A021148
	buffer_load_dwordx4 a[152:155], v51, s[84:87], 0 offen     // 00000000A25C: E05C1000 80959833
	v_mfma_f32_16x16x32_fp8_fp8 v[8:11], a[74:75], a[10:11], v[8:11]// 00000000A264: D3F30008 1C22154A
	v_mfma_f32_16x16x32_fp8_fp8 v[8:11], a[76:77], a[12:13], v[8:11]// 00000000A26C: D3F30008 1C22194C
	v_mfma_f32_16x16x32_fp8_fp8 v[8:11], a[78:79], a[14:15], v[8:11]// 00000000A274: D3F30008 1C221D4E
	v_fma_f32 v92, v12, v6, v92                                // 00000000A27C: D1CB005C 05720D0C
	v_fma_f32 v93, v13, v6, v93                                // 00000000A284: D1CB005D 05760D0D
	v_fma_f32 v94, v14, v6, v94                                // 00000000A28C: D1CB005E 057A0D0E
	v_fma_f32 v95, v15, v6, v95                                // 00000000A294: D1CB005F 057E0D0F
	v_mul_f32_dpp v6, v24, v39 row_newbcast:1 row_mask:0xf bank_mask:0xf// 00000000A29C: 0A0C4EFA FF015118
	v_mfma_f32_16x16x32_fp8_fp8 v[12:15], a[72:73], a[16:17], 0// 00000000A2A4: D3F3000C 1A022148
	buffer_load_dwordx4 a[156:159], v51, s[84:87], 0 offen offset:1024// 00000000A2AC: E05C1400 80959C33
	v_mfma_f32_16x16x32_fp8_fp8 v[12:15], a[74:75], a[18:19], v[12:15]// 00000000A2B4: D3F3000C 1C32254A
	v_mfma_f32_16x16x32_fp8_fp8 v[12:15], a[76:77], a[20:21], v[12:15]// 00000000A2BC: D3F3000C 1C32294C
	v_mfma_f32_16x16x32_fp8_fp8 v[12:15], a[78:79], a[22:23], v[12:15]// 00000000A2C4: D3F3000C 1C322D4E
	v_fma_f32 v96, v8, v4, v96                                 // 00000000A2CC: D1CB0060 05820908
	v_fma_f32 v97, v9, v4, v97                                 // 00000000A2D4: D1CB0061 05860909
	v_fma_f32 v98, v10, v4, v98                                // 00000000A2DC: D1CB0062 058A090A
	v_fma_f32 v99, v11, v4, v99                                // 00000000A2E4: D1CB0063 058E090B
	s_waitcnt vmcnt(19)                                        // 00000000A2EC: BF8C4F73
	v_mul_f32_dpp v4, v24, v37 row_newbcast:2 row_mask:0xf bank_mask:0xf// 00000000A2F0: 0A084AFA FF015218
	v_mfma_f32_16x16x32_fp8_fp8 v[8:11], a[80:81], a[0:1], 0   // 00000000A2F8: D3F30008 1A020150
	buffer_load_dwordx4 a[160:163], v52, s[84:87], 0 offen     // 00000000A300: E05C1000 8095A034
	v_mfma_f32_16x16x32_fp8_fp8 v[8:11], a[82:83], a[2:3], v[8:11]// 00000000A308: D3F30008 1C220552
	v_mfma_f32_16x16x32_fp8_fp8 v[8:11], a[84:85], a[4:5], v[8:11]// 00000000A310: D3F30008 1C220954
	v_mfma_f32_16x16x32_fp8_fp8 v[8:11], a[86:87], a[6:7], v[8:11]// 00000000A318: D3F30008 1C220D56
	v_fma_f32 v100, v12, v6, v100                              // 00000000A320: D1CB0064 05920D0C
	v_fma_f32 v101, v13, v6, v101                              // 00000000A328: D1CB0065 05960D0D
	v_fma_f32 v102, v14, v6, v102                              // 00000000A330: D1CB0066 059A0D0E
	v_fma_f32 v103, v15, v6, v103                              // 00000000A338: D1CB0067 059E0D0F
	v_mul_f32_dpp v6, v24, v38 row_newbcast:2 row_mask:0xf bank_mask:0xf// 00000000A340: 0A0C4CFA FF015218
	v_mfma_f32_16x16x32_fp8_fp8 v[12:15], a[80:81], a[8:9], 0  // 00000000A348: D3F3000C 1A021150
	buffer_load_dwordx4 a[164:167], v52, s[84:87], 0 offen offset:1024// 00000000A350: E05C1400 8095A434
	v_mfma_f32_16x16x32_fp8_fp8 v[12:15], a[82:83], a[10:11], v[12:15]// 00000000A358: D3F3000C 1C321552
	v_mfma_f32_16x16x32_fp8_fp8 v[12:15], a[84:85], a[12:13], v[12:15]// 00000000A360: D3F3000C 1C321954
	v_mfma_f32_16x16x32_fp8_fp8 v[12:15], a[86:87], a[14:15], v[12:15]// 00000000A368: D3F3000C 1C321D56
	v_fma_f32 v104, v8, v4, v104                               // 00000000A370: D1CB0068 05A20908
	v_fma_f32 v105, v9, v4, v105                               // 00000000A378: D1CB0069 05A60909
	v_fma_f32 v106, v10, v4, v106                              // 00000000A380: D1CB006A 05AA090A
	v_fma_f32 v107, v11, v4, v107                              // 00000000A388: D1CB006B 05AE090B
	v_mul_f32_dpp v4, v24, v39 row_newbcast:2 row_mask:0xf bank_mask:0xf// 00000000A390: 0A084EFA FF015218
	v_mfma_f32_16x16x32_fp8_fp8 v[8:11], a[80:81], a[16:17], 0 // 00000000A398: D3F30008 1A022150
	buffer_load_dwordx4 a[168:171], v53, s[84:87], 0 offen     // 00000000A3A0: E05C1000 8095A835
	v_mfma_f32_16x16x32_fp8_fp8 v[8:11], a[82:83], a[18:19], v[8:11]// 00000000A3A8: D3F30008 1C222552
	v_mfma_f32_16x16x32_fp8_fp8 v[8:11], a[84:85], a[20:21], v[8:11]// 00000000A3B0: D3F30008 1C222954
	v_mfma_f32_16x16x32_fp8_fp8 v[8:11], a[86:87], a[22:23], v[8:11]// 00000000A3B8: D3F30008 1C222D56
	v_fma_f32 v108, v12, v6, v108                              // 00000000A3C0: D1CB006C 05B20D0C
	v_fma_f32 v109, v13, v6, v109                              // 00000000A3C8: D1CB006D 05B60D0D
	v_fma_f32 v110, v14, v6, v110                              // 00000000A3D0: D1CB006E 05BA0D0E
	v_fma_f32 v111, v15, v6, v111                              // 00000000A3D8: D1CB006F 05BE0D0F
	s_waitcnt vmcnt(20)                                        // 00000000A3E0: BF8C4F74
	v_mul_f32_dpp v6, v24, v37 row_newbcast:2 row_mask:0xf bank_mask:0xf// 00000000A3E4: 0A0C4AFA FF015218
	v_mfma_f32_16x16x32_fp8_fp8 v[12:15], a[88:89], a[0:1], 0  // 00000000A3EC: D3F3000C 1A020158
	buffer_load_dwordx4 a[172:175], v53, s[84:87], 0 offen offset:1024// 00000000A3F4: E05C1400 8095AC35
	buffer_load_dword v40, s[20:23], 0 offen lds               // 00000000A3FC: E0511000 80050028
	s_add_u32 m0, 0x100, s48                                   // 00000000A404: 807C30FF 00000100
	v_mfma_f32_16x16x32_fp8_fp8 v[12:15], a[90:91], a[2:3], v[12:15]// 00000000A40C: D3F3000C 1C32055A
	v_mfma_f32_16x16x32_fp8_fp8 v[12:15], a[92:93], a[4:5], v[12:15]// 00000000A414: D3F3000C 1C32095C
	buffer_load_dword v41, s[20:23], 0 offen lds               // 00000000A41C: E0511000 80050029
	s_add_u32 m0, 0x200, s48                                   // 00000000A424: 807C30FF 00000200
	v_mfma_f32_16x16x32_fp8_fp8 v[12:15], a[94:95], a[6:7], v[12:15]// 00000000A42C: D3F3000C 1C320D5E
	v_fma_f32 v112, v8, v4, v112                               // 00000000A434: D1CB0070 05C20908
	v_fma_f32 v113, v9, v4, v113                               // 00000000A43C: D1CB0071 05C60909
	v_fma_f32 v114, v10, v4, v114                              // 00000000A444: D1CB0072 05CA090A
	v_fma_f32 v115, v11, v4, v115                              // 00000000A44C: D1CB0073 05CE090B
	v_mul_f32_dpp v4, v24, v38 row_newbcast:2 row_mask:0xf bank_mask:0xf// 00000000A454: 0A084CFA FF015218
	v_mfma_f32_16x16x32_fp8_fp8 v[8:11], a[88:89], a[8:9], 0   // 00000000A45C: D3F30008 1A021158
	buffer_load_dword v42, s[20:23], 0 offen lds               // 00000000A464: E0511000 8005002A
	s_add_u32 m0, 0x300, s48                                   // 00000000A46C: 807C30FF 00000300
	v_mfma_f32_16x16x32_fp8_fp8 v[8:11], a[90:91], a[10:11], v[8:11]// 00000000A474: D3F30008 1C22155A
	v_mfma_f32_16x16x32_fp8_fp8 v[8:11], a[92:93], a[12:13], v[8:11]// 00000000A47C: D3F30008 1C22195C
	buffer_load_dword v43, s[20:23], 0 offen lds               // 00000000A484: E0511000 8005002B
	s_add_u32 m0, 0x400, s48                                   // 00000000A48C: 807C30FF 00000400
	v_mfma_f32_16x16x32_fp8_fp8 v[8:11], a[94:95], a[14:15], v[8:11]// 00000000A494: D3F30008 1C221D5E
	v_fma_f32 v116, v12, v6, v116                              // 00000000A49C: D1CB0074 05D20D0C
	v_fma_f32 v117, v13, v6, v117                              // 00000000A4A4: D1CB0075 05D60D0D
	v_fma_f32 v118, v14, v6, v118                              // 00000000A4AC: D1CB0076 05DA0D0E
	v_fma_f32 v119, v15, v6, v119                              // 00000000A4B4: D1CB0077 05DE0D0F
	v_mul_f32_dpp v6, v24, v39 row_newbcast:2 row_mask:0xf bank_mask:0xf// 00000000A4BC: 0A0C4EFA FF015218
	v_mfma_f32_16x16x32_fp8_fp8 v[12:15], a[88:89], a[16:17], 0// 00000000A4C4: D3F3000C 1A022158
	buffer_load_dword v44, s[20:23], 0 offen lds               // 00000000A4CC: E0511000 8005002C
	s_add_u32 m0, 0x500, s48                                   // 00000000A4D4: 807C30FF 00000500
	v_mfma_f32_16x16x32_fp8_fp8 v[12:15], a[90:91], a[18:19], v[12:15]// 00000000A4DC: D3F3000C 1C32255A
	v_mfma_f32_16x16x32_fp8_fp8 v[12:15], a[92:93], a[20:21], v[12:15]// 00000000A4E4: D3F3000C 1C32295C
	buffer_load_dword v45, s[20:23], 0 offen lds               // 00000000A4EC: E0511000 8005002D
	s_add_u32 m0, 0, s49                                       // 00000000A4F4: 807C3180
	v_mfma_f32_16x16x32_fp8_fp8 v[12:15], a[94:95], a[22:23], v[12:15]// 00000000A4F8: D3F3000C 1C322D5E
	v_fma_f32 v120, v8, v4, v120                               // 00000000A500: D1CB0078 05E20908
	v_fma_f32 v121, v9, v4, v121                               // 00000000A508: D1CB0079 05E60909
	v_fma_f32 v122, v10, v4, v122                              // 00000000A510: D1CB007A 05EA090A
	v_fma_f32 v123, v11, v4, v123                              // 00000000A518: D1CB007B 05EE090B
	s_waitcnt vmcnt(25)                                        // 00000000A520: BF8C4F79
	v_mul_f32_dpp v4, v24, v37 row_newbcast:3 row_mask:0xf bank_mask:0xf// 00000000A524: 0A084AFA FF015318
	v_mfma_f32_16x16x32_fp8_fp8 v[8:11], a[96:97], a[0:1], 0   // 00000000A52C: D3F30008 1A020160
	buffer_load_dword v31, v28, s[28:31], 0 offen              // 00000000A534: E0501000 80071F1C
	v_mfma_f32_16x16x32_fp8_fp8 v[8:11], a[98:99], a[2:3], v[8:11]// 00000000A53C: D3F30008 1C220562
	v_mfma_f32_16x16x32_fp8_fp8 v[8:11], a[100:101], a[4:5], v[8:11]// 00000000A544: D3F30008 1C220964
	buffer_load_dword v32, v29, s[28:31], 0 offen              // 00000000A54C: E0501000 8007201D
	v_mfma_f32_16x16x32_fp8_fp8 v[8:11], a[102:103], a[6:7], v[8:11]// 00000000A554: D3F30008 1C220D66
	v_fma_f32 v124, v12, v6, v124                              // 00000000A55C: D1CB007C 05F20D0C
	v_fma_f32 v125, v13, v6, v125                              // 00000000A564: D1CB007D 05F60D0D
	v_fma_f32 v126, v14, v6, v126                              // 00000000A56C: D1CB007E 05FA0D0E
	v_fma_f32 v127, v15, v6, v127                              // 00000000A574: D1CB007F 05FE0D0F
	v_mul_f32_dpp v6, v24, v38 row_newbcast:3 row_mask:0xf bank_mask:0xf// 00000000A57C: 0A0C4CFA FF015318
	v_mfma_f32_16x16x32_fp8_fp8 v[12:15], a[96:97], a[8:9], 0  // 00000000A584: D3F3000C 1A021160
	buffer_load_dword v33, v30, s[28:31], 0 offen              // 00000000A58C: E0501000 8007211E
	v_mfma_f32_16x16x32_fp8_fp8 v[12:15], a[98:99], a[10:11], v[12:15]// 00000000A594: D3F3000C 1C321562
	v_mfma_f32_16x16x32_fp8_fp8 v[12:15], a[100:101], a[12:13], v[12:15]// 00000000A59C: D3F3000C 1C321964
	v_mfma_f32_16x16x32_fp8_fp8 v[12:15], a[102:103], a[14:15], v[12:15]// 00000000A5A4: D3F3000C 1C321D66
	v_fma_f32 v128, v8, v4, v128                               // 00000000A5AC: D1CB0080 06020908
	v_fma_f32 v129, v9, v4, v129                               // 00000000A5B4: D1CB0081 06060909
	v_fma_f32 v130, v10, v4, v130                              // 00000000A5BC: D1CB0082 060A090A
	v_fma_f32 v131, v11, v4, v131                              // 00000000A5C4: D1CB0083 060E090B
	v_mul_f32_dpp v4, v24, v39 row_newbcast:3 row_mask:0xf bank_mask:0xf// 00000000A5CC: 0A084EFA FF015318
	v_mfma_f32_16x16x32_fp8_fp8 v[8:11], a[96:97], a[16:17], 0 // 00000000A5D4: D3F30008 1A022160
	v_mfma_f32_16x16x32_fp8_fp8 v[8:11], a[98:99], a[18:19], v[8:11]// 00000000A5DC: D3F30008 1C222562
	v_mfma_f32_16x16x32_fp8_fp8 v[8:11], a[100:101], a[20:21], v[8:11]// 00000000A5E4: D3F30008 1C222964
	v_mfma_f32_16x16x32_fp8_fp8 v[8:11], a[102:103], a[22:23], v[8:11]// 00000000A5EC: D3F30008 1C222D66
	v_fma_f32 v132, v12, v6, v132                              // 00000000A5F4: D1CB0084 06120D0C
	v_fma_f32 v133, v13, v6, v133                              // 00000000A5FC: D1CB0085 06160D0D
	v_fma_f32 v134, v14, v6, v134                              // 00000000A604: D1CB0086 061A0D0E
	v_fma_f32 v135, v15, v6, v135                              // 00000000A60C: D1CB0087 061E0D0F
	s_waitcnt vmcnt(26)                                        // 00000000A614: BF8C4F7A
	v_mul_f32_dpp v6, v24, v37 row_newbcast:3 row_mask:0xf bank_mask:0xf// 00000000A618: 0A0C4AFA FF015318
	v_mfma_f32_16x16x32_fp8_fp8 v[12:15], a[104:105], a[0:1], 0// 00000000A620: D3F3000C 1A020168
	v_mfma_f32_16x16x32_fp8_fp8 v[12:15], a[106:107], a[2:3], v[12:15]// 00000000A628: D3F3000C 1C32056A
	v_mfma_f32_16x16x32_fp8_fp8 v[12:15], a[108:109], a[4:5], v[12:15]// 00000000A630: D3F3000C 1C32096C
	v_mfma_f32_16x16x32_fp8_fp8 v[12:15], a[110:111], a[6:7], v[12:15]// 00000000A638: D3F3000C 1C320D6E
	v_fma_f32 v136, v8, v4, v136                               // 00000000A640: D1CB0088 06220908
	v_fma_f32 v137, v9, v4, v137                               // 00000000A648: D1CB0089 06260909
	v_fma_f32 v138, v10, v4, v138                              // 00000000A650: D1CB008A 062A090A
	v_fma_f32 v139, v11, v4, v139                              // 00000000A658: D1CB008B 062E090B
	v_mul_f32_dpp v4, v24, v38 row_newbcast:3 row_mask:0xf bank_mask:0xf// 00000000A660: 0A084CFA FF015318
	v_mfma_f32_16x16x32_fp8_fp8 v[8:11], a[104:105], a[8:9], 0 // 00000000A668: D3F30008 1A021168
	v_mfma_f32_16x16x32_fp8_fp8 v[8:11], a[106:107], a[10:11], v[8:11]// 00000000A670: D3F30008 1C22156A
	v_mfma_f32_16x16x32_fp8_fp8 v[8:11], a[108:109], a[12:13], v[8:11]// 00000000A678: D3F30008 1C22196C
	v_mfma_f32_16x16x32_fp8_fp8 v[8:11], a[110:111], a[14:15], v[8:11]// 00000000A680: D3F30008 1C221D6E
	v_fma_f32 v140, v12, v6, v140                              // 00000000A688: D1CB008C 06320D0C
	v_fma_f32 v141, v13, v6, v141                              // 00000000A690: D1CB008D 06360D0D
	v_fma_f32 v142, v14, v6, v142                              // 00000000A698: D1CB008E 063A0D0E
	v_fma_f32 v143, v15, v6, v143                              // 00000000A6A0: D1CB008F 063E0D0F
	v_mul_f32_dpp v6, v24, v39 row_newbcast:3 row_mask:0xf bank_mask:0xf// 00000000A6A8: 0A0C4EFA FF015318
	v_mfma_f32_16x16x32_fp8_fp8 v[12:15], a[104:105], a[16:17], 0// 00000000A6B0: D3F3000C 1A022168
	v_mfma_f32_16x16x32_fp8_fp8 v[12:15], a[106:107], a[18:19], v[12:15]// 00000000A6B8: D3F3000C 1C32256A
	s_add_u32 s60, 0x80, s80                                   // 00000000A6C0: 803C50FF 00000080
	s_cmp_lt_u32 s60, s81                                      // 00000000A6C8: BF0A513C
	s_cselect_b32 s83, s83, 0                                  // 00000000A6CC: 85538053
	s_cselect_b32 s4, s4, 0                                    // 00000000A6D0: 85048004
	v_mfma_f32_16x16x32_fp8_fp8 v[12:15], a[108:109], a[20:21], v[12:15]// 00000000A6D4: D3F3000C 1C32296C
	s_add_u32 s32, s4, s32                                     // 00000000A6DC: 80202004
	s_addc_u32 s33, 0, s33                                     // 00000000A6E0: 82212180
	v_mfma_f32_16x16x32_fp8_fp8 v[12:15], a[110:111], a[22:23], v[12:15]// 00000000A6E4: D3F3000C 1C322D6E
	v_fma_f32 v144, v8, v4, v144                               // 00000000A6EC: D1CB0090 06420908
	v_fma_f32 v145, v9, v4, v145                               // 00000000A6F4: D1CB0091 06460909
	v_fma_f32 v146, v10, v4, v146                              // 00000000A6FC: D1CB0092 064A090A
	v_fma_f32 v147, v11, v4, v147                              // 00000000A704: D1CB0093 064E090B
	v_fma_f32 v148, v12, v6, v148                              // 00000000A70C: D1CB0094 06520D0C
	v_fma_f32 v149, v13, v6, v149                              // 00000000A714: D1CB0095 06560D0D
	v_fma_f32 v150, v14, v6, v150                              // 00000000A71C: D1CB0096 065A0D0E
	v_fma_f32 v151, v15, v6, v151                              // 00000000A724: D1CB0097 065E0D0F
	s_waitcnt vmcnt(9)                                         // 00000000A72C: BF8C0F79
	v_mul_f32_dpp v4, v27, v37 row_newbcast:0 row_mask:0xf bank_mask:0xf// 00000000A730: 0A084AFA FF01501B
	v_mfma_f32_16x16x32_fp8_fp8 v[8:11], a[112:113], a[0:1], 0 // 00000000A738: D3F30008 1A020170
	buffer_load_dword v24, v22, s[32:35], 0 offen              // 00000000A740: E0501000 80081816
	buffer_load_dwordx4 a[48:51], v46, s[24:27], 0 offen       // 00000000A748: E05C1000 8086302E
	v_mfma_f32_16x16x32_fp8_fp8 v[8:11], a[114:115], a[2:3], v[8:11]// 00000000A750: D3F30008 1C220572
	v_mfma_f32_16x16x32_fp8_fp8 v[8:11], a[116:117], a[4:5], v[8:11]// 00000000A758: D3F30008 1C220974
	ds_read_b128 a[24:27], v2 offset:6272                      // 00000000A760: DBFE1880 18000002
	ds_read_b128 a[28:31], v2 offset:6336                      // 00000000A768: DBFE18C0 1C000002
	v_mfma_f32_16x16x32_fp8_fp8 v[8:11], a[118:119], a[6:7], v[8:11]// 00000000A770: D3F30008 1C220D76
	v_mfma_f32_16x16x32_fp8_fp8 v[12:15], a[120:121], a[0:1], 0// 00000000A778: D3F3000C 1A020178
	buffer_load_dwordx4 a[52:55], v46, s[24:27], 0 offen offset:1024// 00000000A780: E05C1400 8086342E
	v_mfma_f32_16x16x32_fp8_fp8 v[12:15], a[122:123], a[2:3], v[12:15]// 00000000A788: D3F3000C 1C32057A
	v_mfma_f32_16x16x32_fp8_fp8 v[12:15], a[124:125], a[4:5], v[12:15]// 00000000A790: D3F3000C 1C32097C
	ds_read_b128 a[32:35], v2 offset:6784                      // 00000000A798: DBFE1A80 20000002
	ds_read_b128 a[36:39], v2 offset:6848                      // 00000000A7A0: DBFE1AC0 24000002
	v_mfma_f32_16x16x32_fp8_fp8 v[12:15], a[126:127], a[6:7], v[12:15]// 00000000A7A8: D3F3000C 1C320D7E
	v_fma_f32 v152, v8, v4, v152                               // 00000000A7B0: D1CB0098 06620908
	v_fma_f32 v153, v9, v4, v153                               // 00000000A7B8: D1CB0099 06660909
	v_fma_f32 v154, v10, v4, v154                              // 00000000A7C0: D1CB009A 066A090A
	v_fma_f32 v155, v11, v4, v155                              // 00000000A7C8: D1CB009B 066E090B
	v_mul_f32_dpp v6, v27, v37 row_newbcast:1 row_mask:0xf bank_mask:0xf// 00000000A7D0: 0A0C4AFA FF01511B
	v_mfma_f32_16x16x32_fp8_fp8 v[8:11], a[128:129], a[0:1], 0 // 00000000A7D8: D3F30008 1A020180
	buffer_load_dwordx4 a[56:59], v47, s[24:27], 0 offen       // 00000000A7E0: E05C1000 8086382F
	v_mfma_f32_16x16x32_fp8_fp8 v[8:11], a[130:131], a[2:3], v[8:11]// 00000000A7E8: D3F30008 1C220582
	v_mfma_f32_16x16x32_fp8_fp8 v[8:11], a[132:133], a[4:5], v[8:11]// 00000000A7F0: D3F30008 1C220984
	ds_read_b128 a[40:43], v2 offset:7296                      // 00000000A7F8: DBFE1C80 28000002
	ds_read_b128 a[44:47], v2 offset:7360                      // 00000000A800: DBFE1CC0 2C000002
	v_mfma_f32_16x16x32_fp8_fp8 v[8:11], a[134:135], a[6:7], v[8:11]// 00000000A808: D3F30008 1C220D86
	v_fma_f32 v164, v12, v4, v164                              // 00000000A810: D1CB00A4 0692090C
	v_fma_f32 v165, v13, v4, v165                              // 00000000A818: D1CB00A5 0696090D
	v_fma_f32 v166, v14, v4, v166                              // 00000000A820: D1CB00A6 069A090E
	v_fma_f32 v167, v15, v4, v167                              // 00000000A828: D1CB00A7 069E090F
	v_mfma_f32_16x16x32_fp8_fp8 v[12:15], a[136:137], a[0:1], 0// 00000000A830: D3F3000C 1A020188
	buffer_load_dwordx4 a[60:63], v47, s[24:27], 0 offen offset:1024// 00000000A838: E05C1400 80863C2F
	v_mfma_f32_16x16x32_fp8_fp8 v[12:15], a[138:139], a[2:3], v[12:15]// 00000000A840: D3F3000C 1C32058A
	v_mfma_f32_16x16x32_fp8_fp8 v[12:15], a[140:141], a[4:5], v[12:15]// 00000000A848: D3F3000C 1C32098C
	v_mfma_f32_16x16x32_fp8_fp8 v[12:15], a[142:143], a[6:7], v[12:15]// 00000000A850: D3F3000C 1C320D8E
	v_fma_f32 v176, v8, v6, v176                               // 00000000A858: D1CB00B0 06C20D08
	v_fma_f32 v177, v9, v6, v177                               // 00000000A860: D1CB00B1 06C60D09
	v_fma_f32 v178, v10, v6, v178                              // 00000000A868: D1CB00B2 06CA0D0A
	v_fma_f32 v179, v11, v6, v179                              // 00000000A870: D1CB00B3 06CE0D0B
	v_mul_f32_dpp v4, v27, v37 row_newbcast:2 row_mask:0xf bank_mask:0xf// 00000000A878: 0A084AFA FF01521B
	v_mfma_f32_16x16x32_fp8_fp8 v[8:11], a[144:145], a[0:1], 0 // 00000000A880: D3F30008 1A020190
	buffer_load_dwordx4 a[64:67], v48, s[24:27], 0 offen       // 00000000A888: E05C1000 80864030
	v_mfma_f32_16x16x32_fp8_fp8 v[8:11], a[146:147], a[2:3], v[8:11]// 00000000A890: D3F30008 1C220592
	v_mfma_f32_16x16x32_fp8_fp8 v[8:11], a[148:149], a[4:5], v[8:11]// 00000000A898: D3F30008 1C220994
	v_mfma_f32_16x16x32_fp8_fp8 v[8:11], a[150:151], a[6:7], v[8:11]// 00000000A8A0: D3F30008 1C220D96
	v_fma_f32 v188, v12, v6, v188                              // 00000000A8A8: D1CB00BC 06F20D0C
	v_fma_f32 v189, v13, v6, v189                              // 00000000A8B0: D1CB00BD 06F60D0D
	v_fma_f32 v190, v14, v6, v190                              // 00000000A8B8: D1CB00BE 06FA0D0E
	v_fma_f32 v191, v15, v6, v191                              // 00000000A8C0: D1CB00BF 06FE0D0F
	v_mfma_f32_16x16x32_fp8_fp8 v[12:15], a[152:153], a[0:1], 0// 00000000A8C8: D3F3000C 1A020198
	buffer_load_dwordx4 a[68:71], v48, s[24:27], 0 offen offset:1024// 00000000A8D0: E05C1400 80864430
	v_mfma_f32_16x16x32_fp8_fp8 v[12:15], a[154:155], a[2:3], v[12:15]// 00000000A8D8: D3F3000C 1C32059A
	v_mfma_f32_16x16x32_fp8_fp8 v[12:15], a[156:157], a[4:5], v[12:15]// 00000000A8E0: D3F3000C 1C32099C
	v_mfma_f32_16x16x32_fp8_fp8 v[12:15], a[158:159], a[6:7], v[12:15]// 00000000A8E8: D3F3000C 1C320D9E
	v_fma_f32 v200, v8, v4, v200                               // 00000000A8F0: D1CB00C8 07220908
	v_fma_f32 v201, v9, v4, v201                               // 00000000A8F8: D1CB00C9 07260909
	v_fma_f32 v202, v10, v4, v202                              // 00000000A900: D1CB00CA 072A090A
	v_fma_f32 v203, v11, v4, v203                              // 00000000A908: D1CB00CB 072E090B
	v_mul_f32_dpp v6, v27, v37 row_newbcast:3 row_mask:0xf bank_mask:0xf// 00000000A910: 0A0C4AFA FF01531B
	v_mfma_f32_16x16x32_fp8_fp8 v[8:11], a[160:161], a[0:1], 0 // 00000000A918: D3F30008 1A0201A0
	buffer_load_dwordx4 a[72:75], v49, s[24:27], 0 offen       // 00000000A920: E05C1000 80864831
	v_mfma_f32_16x16x32_fp8_fp8 v[8:11], a[162:163], a[2:3], v[8:11]// 00000000A928: D3F30008 1C2205A2
	v_mfma_f32_16x16x32_fp8_fp8 v[8:11], a[164:165], a[4:5], v[8:11]// 00000000A930: D3F30008 1C2209A4
	v_mfma_f32_16x16x32_fp8_fp8 v[8:11], a[166:167], a[6:7], v[8:11]// 00000000A938: D3F30008 1C220DA6
	v_fma_f32 v212, v12, v4, v212                              // 00000000A940: D1CB00D4 0752090C
	v_fma_f32 v213, v13, v4, v213                              // 00000000A948: D1CB00D5 0756090D
	v_fma_f32 v214, v14, v4, v214                              // 00000000A950: D1CB00D6 075A090E
	v_fma_f32 v215, v15, v4, v215                              // 00000000A958: D1CB00D7 075E090F
	v_mfma_f32_16x16x32_fp8_fp8 v[12:15], a[168:169], a[0:1], 0// 00000000A960: D3F3000C 1A0201A8
	buffer_load_dwordx4 a[76:79], v49, s[24:27], 0 offen offset:1024// 00000000A968: E05C1400 80864C31
	v_mfma_f32_16x16x32_fp8_fp8 v[12:15], a[170:171], a[2:3], v[12:15]// 00000000A970: D3F3000C 1C3205AA
	v_mfma_f32_16x16x32_fp8_fp8 v[12:15], a[172:173], a[4:5], v[12:15]// 00000000A978: D3F3000C 1C3209AC
	v_mfma_f32_16x16x32_fp8_fp8 v[12:15], a[174:175], a[6:7], v[12:15]// 00000000A980: D3F3000C 1C320DAE
	v_fma_f32 v224, v8, v6, v224                               // 00000000A988: D1CB00E0 07820D08
	v_fma_f32 v225, v9, v6, v225                               // 00000000A990: D1CB00E1 07860D09
	v_fma_f32 v226, v10, v6, v226                              // 00000000A998: D1CB00E2 078A0D0A
	v_fma_f32 v227, v11, v6, v227                              // 00000000A9A0: D1CB00E3 078E0D0B
	v_mul_f32_dpp v4, v27, v38 row_newbcast:0 row_mask:0xf bank_mask:0xf// 00000000A9A8: 0A084CFA FF01501B
	v_mfma_f32_16x16x32_fp8_fp8 v[8:11], a[112:113], a[8:9], 0 // 00000000A9B0: D3F30008 1A021170
	buffer_load_dwordx4 a[80:83], v50, s[24:27], 0 offen       // 00000000A9B8: E05C1000 80865032
	v_mfma_f32_16x16x32_fp8_fp8 v[8:11], a[114:115], a[10:11], v[8:11]// 00000000A9C0: D3F30008 1C221572
	v_mfma_f32_16x16x32_fp8_fp8 v[8:11], a[116:117], a[12:13], v[8:11]// 00000000A9C8: D3F30008 1C221974
	v_mfma_f32_16x16x32_fp8_fp8 v[8:11], a[118:119], a[14:15], v[8:11]// 00000000A9D0: D3F30008 1C221D76
	v_fma_f32 v236, v12, v6, v236                              // 00000000A9D8: D1CB00EC 07B20D0C
	v_fma_f32 v237, v13, v6, v237                              // 00000000A9E0: D1CB00ED 07B60D0D
	v_fma_f32 v238, v14, v6, v238                              // 00000000A9E8: D1CB00EE 07BA0D0E
	v_fma_f32 v239, v15, v6, v239                              // 00000000A9F0: D1CB00EF 07BE0D0F
	v_mfma_f32_16x16x32_fp8_fp8 v[12:15], a[120:121], a[8:9], 0// 00000000A9F8: D3F3000C 1A021178
	buffer_load_dwordx4 a[84:87], v50, s[24:27], 0 offen offset:1024// 00000000AA00: E05C1400 80865432
	v_mfma_f32_16x16x32_fp8_fp8 v[12:15], a[122:123], a[10:11], v[12:15]// 00000000AA08: D3F3000C 1C32157A
	v_mfma_f32_16x16x32_fp8_fp8 v[12:15], a[124:125], a[12:13], v[12:15]// 00000000AA10: D3F3000C 1C32197C
	v_mfma_f32_16x16x32_fp8_fp8 v[12:15], a[126:127], a[14:15], v[12:15]// 00000000AA18: D3F3000C 1C321D7E
	v_fma_f32 v156, v8, v4, v156                               // 00000000AA20: D1CB009C 06720908
	v_fma_f32 v157, v9, v4, v157                               // 00000000AA28: D1CB009D 06760909
	v_fma_f32 v158, v10, v4, v158                              // 00000000AA30: D1CB009E 067A090A
	v_fma_f32 v159, v11, v4, v159                              // 00000000AA38: D1CB009F 067E090B
	v_mul_f32_dpp v6, v27, v38 row_newbcast:1 row_mask:0xf bank_mask:0xf// 00000000AA40: 0A0C4CFA FF01511B
	v_mfma_f32_16x16x32_fp8_fp8 v[8:11], a[128:129], a[8:9], 0 // 00000000AA48: D3F30008 1A021180
	buffer_load_dwordx4 a[88:91], v51, s[24:27], 0 offen       // 00000000AA50: E05C1000 80865833
	v_mfma_f32_16x16x32_fp8_fp8 v[8:11], a[130:131], a[10:11], v[8:11]// 00000000AA58: D3F30008 1C221582
	v_mfma_f32_16x16x32_fp8_fp8 v[8:11], a[132:133], a[12:13], v[8:11]// 00000000AA60: D3F30008 1C221984
	v_mfma_f32_16x16x32_fp8_fp8 v[8:11], a[134:135], a[14:15], v[8:11]// 00000000AA68: D3F30008 1C221D86
	v_fma_f32 v168, v12, v4, v168                              // 00000000AA70: D1CB00A8 06A2090C
	v_fma_f32 v169, v13, v4, v169                              // 00000000AA78: D1CB00A9 06A6090D
	v_fma_f32 v170, v14, v4, v170                              // 00000000AA80: D1CB00AA 06AA090E
	v_fma_f32 v171, v15, v4, v171                              // 00000000AA88: D1CB00AB 06AE090F
	v_mfma_f32_16x16x32_fp8_fp8 v[12:15], a[136:137], a[8:9], 0// 00000000AA90: D3F3000C 1A021188
	buffer_load_dwordx4 a[92:95], v51, s[24:27], 0 offen offset:1024// 00000000AA98: E05C1400 80865C33
	v_mfma_f32_16x16x32_fp8_fp8 v[12:15], a[138:139], a[10:11], v[12:15]// 00000000AAA0: D3F3000C 1C32158A
	v_mfma_f32_16x16x32_fp8_fp8 v[12:15], a[140:141], a[12:13], v[12:15]// 00000000AAA8: D3F3000C 1C32198C
	v_mfma_f32_16x16x32_fp8_fp8 v[12:15], a[142:143], a[14:15], v[12:15]// 00000000AAB0: D3F3000C 1C321D8E
	v_fma_f32 v180, v8, v6, v180                               // 00000000AAB8: D1CB00B4 06D20D08
	v_fma_f32 v181, v9, v6, v181                               // 00000000AAC0: D1CB00B5 06D60D09
	v_fma_f32 v182, v10, v6, v182                              // 00000000AAC8: D1CB00B6 06DA0D0A
	v_fma_f32 v183, v11, v6, v183                              // 00000000AAD0: D1CB00B7 06DE0D0B
	v_mul_f32_dpp v4, v27, v38 row_newbcast:2 row_mask:0xf bank_mask:0xf// 00000000AAD8: 0A084CFA FF01521B
	v_mfma_f32_16x16x32_fp8_fp8 v[8:11], a[144:145], a[8:9], 0 // 00000000AAE0: D3F30008 1A021190
	buffer_load_dwordx4 a[96:99], v52, s[24:27], 0 offen       // 00000000AAE8: E05C1000 80866034
	v_mfma_f32_16x16x32_fp8_fp8 v[8:11], a[146:147], a[10:11], v[8:11]// 00000000AAF0: D3F30008 1C221592
	v_mfma_f32_16x16x32_fp8_fp8 v[8:11], a[148:149], a[12:13], v[8:11]// 00000000AAF8: D3F30008 1C221994
	v_mfma_f32_16x16x32_fp8_fp8 v[8:11], a[150:151], a[14:15], v[8:11]// 00000000AB00: D3F30008 1C221D96
	v_fma_f32 v192, v12, v6, v192                              // 00000000AB08: D1CB00C0 07020D0C
	v_fma_f32 v193, v13, v6, v193                              // 00000000AB10: D1CB00C1 07060D0D
	v_fma_f32 v194, v14, v6, v194                              // 00000000AB18: D1CB00C2 070A0D0E
	v_fma_f32 v195, v15, v6, v195                              // 00000000AB20: D1CB00C3 070E0D0F
	v_mfma_f32_16x16x32_fp8_fp8 v[12:15], a[152:153], a[8:9], 0// 00000000AB28: D3F3000C 1A021198
	buffer_load_dwordx4 a[100:103], v52, s[24:27], 0 offen offset:1024// 00000000AB30: E05C1400 80866434
	v_mfma_f32_16x16x32_fp8_fp8 v[12:15], a[154:155], a[10:11], v[12:15]// 00000000AB38: D3F3000C 1C32159A
	v_mfma_f32_16x16x32_fp8_fp8 v[12:15], a[156:157], a[12:13], v[12:15]// 00000000AB40: D3F3000C 1C32199C
	v_mfma_f32_16x16x32_fp8_fp8 v[12:15], a[158:159], a[14:15], v[12:15]// 00000000AB48: D3F3000C 1C321D9E
	v_fma_f32 v204, v8, v4, v204                               // 00000000AB50: D1CB00CC 07320908
	v_fma_f32 v205, v9, v4, v205                               // 00000000AB58: D1CB00CD 07360909
	v_fma_f32 v206, v10, v4, v206                              // 00000000AB60: D1CB00CE 073A090A
	v_fma_f32 v207, v11, v4, v207                              // 00000000AB68: D1CB00CF 073E090B
	v_mul_f32_dpp v6, v27, v38 row_newbcast:3 row_mask:0xf bank_mask:0xf// 00000000AB70: 0A0C4CFA FF01531B
	v_mfma_f32_16x16x32_fp8_fp8 v[8:11], a[160:161], a[8:9], 0 // 00000000AB78: D3F30008 1A0211A0
	buffer_load_dwordx4 a[104:107], v53, s[24:27], 0 offen     // 00000000AB80: E05C1000 80866835
	v_mfma_f32_16x16x32_fp8_fp8 v[8:11], a[162:163], a[10:11], v[8:11]// 00000000AB88: D3F30008 1C2215A2
	v_mfma_f32_16x16x32_fp8_fp8 v[8:11], a[164:165], a[12:13], v[8:11]// 00000000AB90: D3F30008 1C2219A4
	v_mfma_f32_16x16x32_fp8_fp8 v[8:11], a[166:167], a[14:15], v[8:11]// 00000000AB98: D3F30008 1C221DA6
	v_fma_f32 v216, v12, v4, v216                              // 00000000ABA0: D1CB00D8 0762090C
	v_fma_f32 v217, v13, v4, v217                              // 00000000ABA8: D1CB00D9 0766090D
	v_fma_f32 v218, v14, v4, v218                              // 00000000ABB0: D1CB00DA 076A090E
	v_fma_f32 v219, v15, v4, v219                              // 00000000ABB8: D1CB00DB 076E090F
	v_mfma_f32_16x16x32_fp8_fp8 v[12:15], a[168:169], a[8:9], 0// 00000000ABC0: D3F3000C 1A0211A8
	buffer_load_dwordx4 a[108:111], v53, s[24:27], 0 offen offset:1024// 00000000ABC8: E05C1400 80866C35
	v_mfma_f32_16x16x32_fp8_fp8 v[12:15], a[170:171], a[10:11], v[12:15]// 00000000ABD0: D3F3000C 1C3215AA
	v_mfma_f32_16x16x32_fp8_fp8 v[12:15], a[172:173], a[12:13], v[12:15]// 00000000ABD8: D3F3000C 1C3219AC
	v_mfma_f32_16x16x32_fp8_fp8 v[12:15], a[174:175], a[14:15], v[12:15]// 00000000ABE0: D3F3000C 1C321DAE
	v_fma_f32 v228, v8, v6, v228                               // 00000000ABE8: D1CB00E4 07920D08
	v_fma_f32 v229, v9, v6, v229                               // 00000000ABF0: D1CB00E5 07960D09
	v_fma_f32 v230, v10, v6, v230                              // 00000000ABF8: D1CB00E6 079A0D0A
	v_fma_f32 v231, v11, v6, v231                              // 00000000AC00: D1CB00E7 079E0D0B
	v_mul_f32_dpp v4, v27, v39 row_newbcast:0 row_mask:0xf bank_mask:0xf// 00000000AC08: 0A084EFA FF01501B
	v_mfma_f32_16x16x32_fp8_fp8 v[8:11], a[112:113], a[16:17], 0// 00000000AC10: D3F30008 1A022170
	v_mfma_f32_16x16x32_fp8_fp8 v[8:11], a[114:115], a[18:19], v[8:11]// 00000000AC18: D3F30008 1C222572
	v_mfma_f32_16x16x32_fp8_fp8 v[8:11], a[116:117], a[20:21], v[8:11]// 00000000AC20: D3F30008 1C222974
	v_mfma_f32_16x16x32_fp8_fp8 v[8:11], a[118:119], a[22:23], v[8:11]// 00000000AC28: D3F30008 1C222D76
	v_fma_f32 v240, v12, v6, v240                              // 00000000AC30: D1CB00F0 07C20D0C
	v_fma_f32 v241, v13, v6, v241                              // 00000000AC38: D1CB00F1 07C60D0D
	v_fma_f32 v242, v14, v6, v242                              // 00000000AC40: D1CB00F2 07CA0D0E
	v_fma_f32 v243, v15, v6, v243                              // 00000000AC48: D1CB00F3 07CE0D0F
	v_mfma_f32_16x16x32_fp8_fp8 v[12:15], a[120:121], a[16:17], 0// 00000000AC50: D3F3000C 1A022178
	v_mfma_f32_16x16x32_fp8_fp8 v[12:15], a[122:123], a[18:19], v[12:15]// 00000000AC58: D3F3000C 1C32257A
	v_mfma_f32_16x16x32_fp8_fp8 v[12:15], a[124:125], a[20:21], v[12:15]// 00000000AC60: D3F3000C 1C32297C
	v_mfma_f32_16x16x32_fp8_fp8 v[12:15], a[126:127], a[22:23], v[12:15]// 00000000AC68: D3F3000C 1C322D7E
	v_fma_f32 v160, v8, v4, v160                               // 00000000AC70: D1CB00A0 06820908
	v_fma_f32 v161, v9, v4, v161                               // 00000000AC78: D1CB00A1 06860909
	v_fma_f32 v162, v10, v4, v162                              // 00000000AC80: D1CB00A2 068A090A
	v_fma_f32 v163, v11, v4, v163                              // 00000000AC88: D1CB00A3 068E090B
	v_mul_f32_dpp v6, v27, v39 row_newbcast:1 row_mask:0xf bank_mask:0xf// 00000000AC90: 0A0C4EFA FF01511B
	v_mfma_f32_16x16x32_fp8_fp8 v[8:11], a[128:129], a[16:17], 0// 00000000AC98: D3F30008 1A022180
	v_mfma_f32_16x16x32_fp8_fp8 v[8:11], a[130:131], a[18:19], v[8:11]// 00000000ACA0: D3F30008 1C222582
	v_mfma_f32_16x16x32_fp8_fp8 v[8:11], a[132:133], a[20:21], v[8:11]// 00000000ACA8: D3F30008 1C222984
	v_mfma_f32_16x16x32_fp8_fp8 v[8:11], a[134:135], a[22:23], v[8:11]// 00000000ACB0: D3F30008 1C222D86
	v_fma_f32 v172, v12, v4, v172                              // 00000000ACB8: D1CB00AC 06B2090C
	v_fma_f32 v173, v13, v4, v173                              // 00000000ACC0: D1CB00AD 06B6090D
	v_fma_f32 v174, v14, v4, v174                              // 00000000ACC8: D1CB00AE 06BA090E
	v_fma_f32 v175, v15, v4, v175                              // 00000000ACD0: D1CB00AF 06BE090F
	v_mfma_f32_16x16x32_fp8_fp8 v[12:15], a[136:137], a[16:17], 0// 00000000ACD8: D3F3000C 1A022188
	v_mfma_f32_16x16x32_fp8_fp8 v[12:15], a[138:139], a[18:19], v[12:15]// 00000000ACE0: D3F3000C 1C32258A
	v_mfma_f32_16x16x32_fp8_fp8 v[12:15], a[140:141], a[20:21], v[12:15]// 00000000ACE8: D3F3000C 1C32298C
	v_mfma_f32_16x16x32_fp8_fp8 v[12:15], a[142:143], a[22:23], v[12:15]// 00000000ACF0: D3F3000C 1C322D8E
	v_fma_f32 v184, v8, v6, v184                               // 00000000ACF8: D1CB00B8 06E20D08
	v_fma_f32 v185, v9, v6, v185                               // 00000000AD00: D1CB00B9 06E60D09
	v_fma_f32 v186, v10, v6, v186                              // 00000000AD08: D1CB00BA 06EA0D0A
	v_fma_f32 v187, v11, v6, v187                              // 00000000AD10: D1CB00BB 06EE0D0B
	v_mul_f32_dpp v4, v27, v39 row_newbcast:2 row_mask:0xf bank_mask:0xf// 00000000AD18: 0A084EFA FF01521B
	v_mfma_f32_16x16x32_fp8_fp8 v[8:11], a[144:145], a[16:17], 0// 00000000AD20: D3F30008 1A022190
	v_mfma_f32_16x16x32_fp8_fp8 v[8:11], a[146:147], a[18:19], v[8:11]// 00000000AD28: D3F30008 1C222592
	v_mfma_f32_16x16x32_fp8_fp8 v[8:11], a[148:149], a[20:21], v[8:11]// 00000000AD30: D3F30008 1C222994
	v_mfma_f32_16x16x32_fp8_fp8 v[8:11], a[150:151], a[22:23], v[8:11]// 00000000AD38: D3F30008 1C222D96
	v_fma_f32 v196, v12, v6, v196                              // 00000000AD40: D1CB00C4 07120D0C
	v_fma_f32 v197, v13, v6, v197                              // 00000000AD48: D1CB00C5 07160D0D
	v_fma_f32 v198, v14, v6, v198                              // 00000000AD50: D1CB00C6 071A0D0E
	v_fma_f32 v199, v15, v6, v199                              // 00000000AD58: D1CB00C7 071E0D0F
	v_mfma_f32_16x16x32_fp8_fp8 v[12:15], a[152:153], a[16:17], 0// 00000000AD60: D3F3000C 1A022198
	v_mfma_f32_16x16x32_fp8_fp8 v[12:15], a[154:155], a[18:19], v[12:15]// 00000000AD68: D3F3000C 1C32259A
	v_mfma_f32_16x16x32_fp8_fp8 v[12:15], a[156:157], a[20:21], v[12:15]// 00000000AD70: D3F3000C 1C32299C
	v_mfma_f32_16x16x32_fp8_fp8 v[12:15], a[158:159], a[22:23], v[12:15]// 00000000AD78: D3F3000C 1C322D9E
	v_fma_f32 v208, v8, v4, v208                               // 00000000AD80: D1CB00D0 07420908
	v_fma_f32 v209, v9, v4, v209                               // 00000000AD88: D1CB00D1 07460909
	v_fma_f32 v210, v10, v4, v210                              // 00000000AD90: D1CB00D2 074A090A
	v_fma_f32 v211, v11, v4, v211                              // 00000000AD98: D1CB00D3 074E090B
	v_mul_f32_dpp v6, v27, v39 row_newbcast:3 row_mask:0xf bank_mask:0xf// 00000000ADA0: 0A0C4EFA FF01531B
	v_mfma_f32_16x16x32_fp8_fp8 v[8:11], a[160:161], a[16:17], 0// 00000000ADA8: D3F30008 1A0221A0
	v_mfma_f32_16x16x32_fp8_fp8 v[8:11], a[162:163], a[18:19], v[8:11]// 00000000ADB0: D3F30008 1C2225A2
	v_mfma_f32_16x16x32_fp8_fp8 v[8:11], a[164:165], a[20:21], v[8:11]// 00000000ADB8: D3F30008 1C2229A4
	s_add_u32 s60, 0x180, s80                                  // 00000000ADC0: 803C50FF 00000180
	s_cmp_lt_u32 s60, s81                                      // 00000000ADC8: BF0A513C
	s_cselect_b32 s57, s57, 0                                  // 00000000ADCC: 85398039
	s_cselect_b32 s3, s3, 0                                    // 00000000ADD0: 85038003
	v_mfma_f32_16x16x32_fp8_fp8 v[8:11], a[166:167], a[22:23], v[8:11]// 00000000ADD4: D3F30008 1C222DA6
	s_add_u32 s60, 0x100, s80                                  // 00000000ADDC: 803C50FF 00000100
	s_cmp_lt_u32 s60, s81                                      // 00000000ADE4: BF0A513C
	s_cselect_b32 s58, s58, 0                                  // 00000000ADE8: 853A803A
	v_fma_f32 v220, v12, v4, v220                              // 00000000ADEC: D1CB00DC 0772090C
	v_fma_f32 v221, v13, v4, v221                              // 00000000ADF4: D1CB00DD 0776090D
	v_fma_f32 v222, v14, v4, v222                              // 00000000ADFC: D1CB00DE 077A090E
	v_fma_f32 v223, v15, v4, v223                              // 00000000AE04: D1CB00DF 077E090F
	v_mfma_f32_16x16x32_fp8_fp8 v[12:15], a[168:169], a[16:17], 0// 00000000AE0C: D3F3000C 1A0221A8
	s_add_u32 s24, s58, s24                                    // 00000000AE14: 8018183A
	s_addc_u32 s25, 0, s25                                     // 00000000AE18: 82191980
	v_mfma_f32_16x16x32_fp8_fp8 v[12:15], a[170:171], a[18:19], v[12:15]// 00000000AE1C: D3F3000C 1C3225AA
	s_add_u32 s20, s57, s20                                    // 00000000AE24: 80141439
	s_addc_u32 s21, 0, s21                                     // 00000000AE28: 82151580
	s_add_u32 s28, s3, s28                                     // 00000000AE2C: 801C1C03
	s_addc_u32 s29, 0, s29                                     // 00000000AE30: 821D1D80
	v_mfma_f32_16x16x32_fp8_fp8 v[12:15], a[172:173], a[20:21], v[12:15]// 00000000AE34: D3F3000C 1C3229AC
	s_add_u32 s84, s83, s84                                    // 00000000AE3C: 80545453
	s_addc_u32 s85, 0, s85                                     // 00000000AE40: 82555580
	v_mfma_f32_16x16x32_fp8_fp8 v[12:15], a[174:175], a[22:23], v[12:15]// 00000000AE44: D3F3000C 1C322DAE
	v_fma_f32 v232, v8, v6, v232                               // 00000000AE4C: D1CB00E8 07A20D08
	v_fma_f32 v233, v9, v6, v233                               // 00000000AE54: D1CB00E9 07A60D09
	v_fma_f32 v234, v10, v6, v234                              // 00000000AE5C: D1CB00EA 07AA0D0A
	v_fma_f32 v235, v11, v6, v235                              // 00000000AE64: D1CB00EB 07AE0D0B
	v_fma_f32 v244, v12, v6, v244                              // 00000000AE6C: D1CB00F4 07D20D0C
	v_fma_f32 v245, v13, v6, v245                              // 00000000AE74: D1CB00F5 07D60D0D
	v_fma_f32 v246, v14, v6, v246                              // 00000000AE7C: D1CB00F6 07DA0D0E
	v_fma_f32 v247, v15, v6, v247                              // 00000000AE84: D1CB00F7 07DE0D0F
	s_addk_i32 s80, 0x80                                       // 00000000AE8C: B7500080
	s_cmp_lt_i32 s80, s81                                      // 00000000AE90: BF045150
	s_cbranch_scc0 label_2507                                  // 00000000AE94: BF8403DE
	s_waitcnt vmcnt(14) lgkmcnt(0)                             // 00000000AE98: BF8C007E
	s_barrier                                                  // 00000000AE9C: BF8A0000
	v_mov_b32_e32 v37, v34                                     // 00000000AEA0: 7E4A0322
	v_mov_b32_e32 v38, v35                                     // 00000000AEA4: 7E4C0323
	v_mov_b32_e32 v39, v36                                     // 00000000AEA8: 7E4E0324
	v_mul_f32_dpp v4, v24, v37 row_newbcast:0 row_mask:0xf bank_mask:0xf// 00000000AEAC: 0A084AFA FF015018
	v_mfma_f32_16x16x32_fp8_fp8 v[8:11], a[48:49], a[24:25], 0 // 00000000AEB4: D3F30008 1A023130
	buffer_load_dword v27, v23, s[32:35], 0 offen              // 00000000AEBC: E0501000 80081B17
	buffer_load_dwordx4 a[112:115], v46, s[84:87], 0 offen     // 00000000AEC4: E05C1000 8095702E
	v_mfma_f32_16x16x32_fp8_fp8 v[8:11], a[50:51], a[26:27], v[8:11]// 00000000AECC: D3F30008 1C223532
	v_mfma_f32_16x16x32_fp8_fp8 v[8:11], a[52:53], a[28:29], v[8:11]// 00000000AED4: D3F30008 1C223934
	v_mfma_f32_16x16x32_fp8_fp8 v[8:11], a[54:55], a[30:31], v[8:11]// 00000000AEDC: D3F30008 1C223D36
	v_mul_f32_dpp v6, v24, v38 row_newbcast:0 row_mask:0xf bank_mask:0xf// 00000000AEE4: 0A0C4CFA FF015018
	v_mfma_f32_16x16x32_fp8_fp8 v[12:15], a[48:49], a[32:33], 0// 00000000AEEC: D3F3000C 1A024130
	buffer_load_dwordx4 a[116:119], v46, s[84:87], 0 offen offset:1024// 00000000AEF4: E05C1400 8095742E
	v_mfma_f32_16x16x32_fp8_fp8 v[12:15], a[50:51], a[34:35], v[12:15]// 00000000AEFC: D3F3000C 1C324532
	v_mfma_f32_16x16x32_fp8_fp8 v[12:15], a[52:53], a[36:37], v[12:15]// 00000000AF04: D3F3000C 1C324934
	v_mfma_f32_16x16x32_fp8_fp8 v[12:15], a[54:55], a[38:39], v[12:15]// 00000000AF0C: D3F3000C 1C324D36
	v_fma_f32 v56, v8, v4, v56                                 // 00000000AF14: D1CB0038 04E20908
	v_fma_f32 v57, v9, v4, v57                                 // 00000000AF1C: D1CB0039 04E60909
	v_fma_f32 v58, v10, v4, v58                                // 00000000AF24: D1CB003A 04EA090A
	v_fma_f32 v59, v11, v4, v59                                // 00000000AF2C: D1CB003B 04EE090B
	v_mul_f32_dpp v4, v24, v39 row_newbcast:0 row_mask:0xf bank_mask:0xf// 00000000AF34: 0A084EFA FF015018
	v_mfma_f32_16x16x32_fp8_fp8 v[8:11], a[48:49], a[40:41], 0 // 00000000AF3C: D3F30008 1A025130
	buffer_load_dwordx4 a[120:123], v47, s[84:87], 0 offen     // 00000000AF44: E05C1000 8095782F
	v_mfma_f32_16x16x32_fp8_fp8 v[8:11], a[50:51], a[42:43], v[8:11]// 00000000AF4C: D3F30008 1C225532
	v_mfma_f32_16x16x32_fp8_fp8 v[8:11], a[52:53], a[44:45], v[8:11]// 00000000AF54: D3F30008 1C225934
	v_mfma_f32_16x16x32_fp8_fp8 v[8:11], a[54:55], a[46:47], v[8:11]// 00000000AF5C: D3F30008 1C225D36
	v_fma_f32 v60, v12, v6, v60                                // 00000000AF64: D1CB003C 04F20D0C
	v_fma_f32 v61, v13, v6, v61                                // 00000000AF6C: D1CB003D 04F60D0D
	v_fma_f32 v62, v14, v6, v62                                // 00000000AF74: D1CB003E 04FA0D0E
	v_fma_f32 v63, v15, v6, v63                                // 00000000AF7C: D1CB003F 04FE0D0F
	s_waitcnt vmcnt(16)                                        // 00000000AF84: BF8C4F70
	v_mul_f32_dpp v6, v24, v37 row_newbcast:0 row_mask:0xf bank_mask:0xf// 00000000AF88: 0A0C4AFA FF015018
	v_mfma_f32_16x16x32_fp8_fp8 v[12:15], a[56:57], a[24:25], 0// 00000000AF90: D3F3000C 1A023138
	buffer_load_dwordx4 a[124:127], v47, s[84:87], 0 offen offset:1024// 00000000AF98: E05C1400 80957C2F
	v_mfma_f32_16x16x32_fp8_fp8 v[12:15], a[58:59], a[26:27], v[12:15]// 00000000AFA0: D3F3000C 1C32353A
	v_mfma_f32_16x16x32_fp8_fp8 v[12:15], a[60:61], a[28:29], v[12:15]// 00000000AFA8: D3F3000C 1C32393C
	v_mfma_f32_16x16x32_fp8_fp8 v[12:15], a[62:63], a[30:31], v[12:15]// 00000000AFB0: D3F3000C 1C323D3E
	v_fma_f32 v64, v8, v4, v64                                 // 00000000AFB8: D1CB0040 05020908
	v_fma_f32 v65, v9, v4, v65                                 // 00000000AFC0: D1CB0041 05060909
	v_fma_f32 v66, v10, v4, v66                                // 00000000AFC8: D1CB0042 050A090A
	v_fma_f32 v67, v11, v4, v67                                // 00000000AFD0: D1CB0043 050E090B
	v_mul_f32_dpp v4, v24, v38 row_newbcast:0 row_mask:0xf bank_mask:0xf// 00000000AFD8: 0A084CFA FF015018
	v_mfma_f32_16x16x32_fp8_fp8 v[8:11], a[56:57], a[32:33], 0 // 00000000AFE0: D3F30008 1A024138
	buffer_load_dwordx4 a[128:131], v48, s[84:87], 0 offen     // 00000000AFE8: E05C1000 80958030
	v_mfma_f32_16x16x32_fp8_fp8 v[8:11], a[58:59], a[34:35], v[8:11]// 00000000AFF0: D3F30008 1C22453A
	v_mfma_f32_16x16x32_fp8_fp8 v[8:11], a[60:61], a[36:37], v[8:11]// 00000000AFF8: D3F30008 1C22493C
	v_mfma_f32_16x16x32_fp8_fp8 v[8:11], a[62:63], a[38:39], v[8:11]// 00000000B000: D3F30008 1C224D3E
	v_fma_f32 v68, v12, v6, v68                                // 00000000B008: D1CB0044 05120D0C
	v_fma_f32 v69, v13, v6, v69                                // 00000000B010: D1CB0045 05160D0D
	v_fma_f32 v70, v14, v6, v70                                // 00000000B018: D1CB0046 051A0D0E
	v_fma_f32 v71, v15, v6, v71                                // 00000000B020: D1CB0047 051E0D0F
	v_mul_f32_dpp v6, v24, v39 row_newbcast:0 row_mask:0xf bank_mask:0xf// 00000000B028: 0A0C4EFA FF015018
	v_mfma_f32_16x16x32_fp8_fp8 v[12:15], a[56:57], a[40:41], 0// 00000000B030: D3F3000C 1A025138
	buffer_load_dwordx4 a[132:135], v48, s[84:87], 0 offen offset:1024// 00000000B038: E05C1400 80958430
	v_mfma_f32_16x16x32_fp8_fp8 v[12:15], a[58:59], a[42:43], v[12:15]// 00000000B040: D3F3000C 1C32553A
	v_mfma_f32_16x16x32_fp8_fp8 v[12:15], a[60:61], a[44:45], v[12:15]// 00000000B048: D3F3000C 1C32593C
	v_mfma_f32_16x16x32_fp8_fp8 v[12:15], a[62:63], a[46:47], v[12:15]// 00000000B050: D3F3000C 1C325D3E
	v_fma_f32 v72, v8, v4, v72                                 // 00000000B058: D1CB0048 05220908
	v_fma_f32 v73, v9, v4, v73                                 // 00000000B060: D1CB0049 05260909
	v_fma_f32 v74, v10, v4, v74                                // 00000000B068: D1CB004A 052A090A
	v_fma_f32 v75, v11, v4, v75                                // 00000000B070: D1CB004B 052E090B
	s_waitcnt vmcnt(17)                                        // 00000000B078: BF8C4F71
	v_mul_f32_dpp v4, v24, v37 row_newbcast:1 row_mask:0xf bank_mask:0xf// 00000000B07C: 0A084AFA FF015118
	v_mfma_f32_16x16x32_fp8_fp8 v[8:11], a[64:65], a[24:25], 0 // 00000000B084: D3F30008 1A023140
	buffer_load_dwordx4 a[136:139], v49, s[84:87], 0 offen     // 00000000B08C: E05C1000 80958831
	v_mfma_f32_16x16x32_fp8_fp8 v[8:11], a[66:67], a[26:27], v[8:11]// 00000000B094: D3F30008 1C223542
	v_mfma_f32_16x16x32_fp8_fp8 v[8:11], a[68:69], a[28:29], v[8:11]// 00000000B09C: D3F30008 1C223944
	v_mfma_f32_16x16x32_fp8_fp8 v[8:11], a[70:71], a[30:31], v[8:11]// 00000000B0A4: D3F30008 1C223D46
	v_fma_f32 v76, v12, v6, v76                                // 00000000B0AC: D1CB004C 05320D0C
	v_fma_f32 v77, v13, v6, v77                                // 00000000B0B4: D1CB004D 05360D0D
	v_fma_f32 v78, v14, v6, v78                                // 00000000B0BC: D1CB004E 053A0D0E
	v_fma_f32 v79, v15, v6, v79                                // 00000000B0C4: D1CB004F 053E0D0F
	v_mul_f32_dpp v6, v24, v38 row_newbcast:1 row_mask:0xf bank_mask:0xf// 00000000B0CC: 0A0C4CFA FF015118
	v_mfma_f32_16x16x32_fp8_fp8 v[12:15], a[64:65], a[32:33], 0// 00000000B0D4: D3F3000C 1A024140
	buffer_load_dwordx4 a[140:143], v49, s[84:87], 0 offen offset:1024// 00000000B0DC: E05C1400 80958C31
	v_mfma_f32_16x16x32_fp8_fp8 v[12:15], a[66:67], a[34:35], v[12:15]// 00000000B0E4: D3F3000C 1C324542
	v_mfma_f32_16x16x32_fp8_fp8 v[12:15], a[68:69], a[36:37], v[12:15]// 00000000B0EC: D3F3000C 1C324944
	v_mfma_f32_16x16x32_fp8_fp8 v[12:15], a[70:71], a[38:39], v[12:15]// 00000000B0F4: D3F3000C 1C324D46
	v_fma_f32 v80, v8, v4, v80                                 // 00000000B0FC: D1CB0050 05420908
	v_fma_f32 v81, v9, v4, v81                                 // 00000000B104: D1CB0051 05460909
	v_fma_f32 v82, v10, v4, v82                                // 00000000B10C: D1CB0052 054A090A
	v_fma_f32 v83, v11, v4, v83                                // 00000000B114: D1CB0053 054E090B
	v_mul_f32_dpp v4, v24, v39 row_newbcast:1 row_mask:0xf bank_mask:0xf// 00000000B11C: 0A084EFA FF015118
	v_mfma_f32_16x16x32_fp8_fp8 v[8:11], a[64:65], a[40:41], 0 // 00000000B124: D3F30008 1A025140
	buffer_load_dwordx4 a[144:147], v50, s[84:87], 0 offen     // 00000000B12C: E05C1000 80959032
	v_mfma_f32_16x16x32_fp8_fp8 v[8:11], a[66:67], a[42:43], v[8:11]// 00000000B134: D3F30008 1C225542
	v_mfma_f32_16x16x32_fp8_fp8 v[8:11], a[68:69], a[44:45], v[8:11]// 00000000B13C: D3F30008 1C225944
	v_mfma_f32_16x16x32_fp8_fp8 v[8:11], a[70:71], a[46:47], v[8:11]// 00000000B144: D3F30008 1C225D46
	v_fma_f32 v84, v12, v6, v84                                // 00000000B14C: D1CB0054 05520D0C
	v_fma_f32 v85, v13, v6, v85                                // 00000000B154: D1CB0055 05560D0D
	v_fma_f32 v86, v14, v6, v86                                // 00000000B15C: D1CB0056 055A0D0E
	v_fma_f32 v87, v15, v6, v87                                // 00000000B164: D1CB0057 055E0D0F
	s_waitcnt vmcnt(18)                                        // 00000000B16C: BF8C4F72
	v_mul_f32_dpp v6, v24, v37 row_newbcast:1 row_mask:0xf bank_mask:0xf// 00000000B170: 0A0C4AFA FF015118
	v_mfma_f32_16x16x32_fp8_fp8 v[12:15], a[72:73], a[24:25], 0// 00000000B178: D3F3000C 1A023148
	buffer_load_dwordx4 a[148:151], v50, s[84:87], 0 offen offset:1024// 00000000B180: E05C1400 80959432
	v_mfma_f32_16x16x32_fp8_fp8 v[12:15], a[74:75], a[26:27], v[12:15]// 00000000B188: D3F3000C 1C32354A
	v_mfma_f32_16x16x32_fp8_fp8 v[12:15], a[76:77], a[28:29], v[12:15]// 00000000B190: D3F3000C 1C32394C
	v_mfma_f32_16x16x32_fp8_fp8 v[12:15], a[78:79], a[30:31], v[12:15]// 00000000B198: D3F3000C 1C323D4E
	v_fma_f32 v88, v8, v4, v88                                 // 00000000B1A0: D1CB0058 05620908
	v_fma_f32 v89, v9, v4, v89                                 // 00000000B1A8: D1CB0059 05660909
	v_fma_f32 v90, v10, v4, v90                                // 00000000B1B0: D1CB005A 056A090A
	v_fma_f32 v91, v11, v4, v91                                // 00000000B1B8: D1CB005B 056E090B
	v_mul_f32_dpp v4, v24, v38 row_newbcast:1 row_mask:0xf bank_mask:0xf// 00000000B1C0: 0A084CFA FF015118
	v_mfma_f32_16x16x32_fp8_fp8 v[8:11], a[72:73], a[32:33], 0 // 00000000B1C8: D3F30008 1A024148
	buffer_load_dwordx4 a[152:155], v51, s[84:87], 0 offen     // 00000000B1D0: E05C1000 80959833
	v_mfma_f32_16x16x32_fp8_fp8 v[8:11], a[74:75], a[34:35], v[8:11]// 00000000B1D8: D3F30008 1C22454A
	v_mfma_f32_16x16x32_fp8_fp8 v[8:11], a[76:77], a[36:37], v[8:11]// 00000000B1E0: D3F30008 1C22494C
	v_mfma_f32_16x16x32_fp8_fp8 v[8:11], a[78:79], a[38:39], v[8:11]// 00000000B1E8: D3F30008 1C224D4E
	v_fma_f32 v92, v12, v6, v92                                // 00000000B1F0: D1CB005C 05720D0C
	v_fma_f32 v93, v13, v6, v93                                // 00000000B1F8: D1CB005D 05760D0D
	v_fma_f32 v94, v14, v6, v94                                // 00000000B200: D1CB005E 057A0D0E
	v_fma_f32 v95, v15, v6, v95                                // 00000000B208: D1CB005F 057E0D0F
	v_mul_f32_dpp v6, v24, v39 row_newbcast:1 row_mask:0xf bank_mask:0xf// 00000000B210: 0A0C4EFA FF015118
	v_mfma_f32_16x16x32_fp8_fp8 v[12:15], a[72:73], a[40:41], 0// 00000000B218: D3F3000C 1A025148
	buffer_load_dwordx4 a[156:159], v51, s[84:87], 0 offen offset:1024// 00000000B220: E05C1400 80959C33
	v_mfma_f32_16x16x32_fp8_fp8 v[12:15], a[74:75], a[42:43], v[12:15]// 00000000B228: D3F3000C 1C32554A
	v_mfma_f32_16x16x32_fp8_fp8 v[12:15], a[76:77], a[44:45], v[12:15]// 00000000B230: D3F3000C 1C32594C
	v_mfma_f32_16x16x32_fp8_fp8 v[12:15], a[78:79], a[46:47], v[12:15]// 00000000B238: D3F3000C 1C325D4E
	v_fma_f32 v96, v8, v4, v96                                 // 00000000B240: D1CB0060 05820908
	v_fma_f32 v97, v9, v4, v97                                 // 00000000B248: D1CB0061 05860909
	v_fma_f32 v98, v10, v4, v98                                // 00000000B250: D1CB0062 058A090A
	v_fma_f32 v99, v11, v4, v99                                // 00000000B258: D1CB0063 058E090B
	s_waitcnt vmcnt(19)                                        // 00000000B260: BF8C4F73
	v_mul_f32_dpp v4, v24, v37 row_newbcast:2 row_mask:0xf bank_mask:0xf// 00000000B264: 0A084AFA FF015218
	v_mfma_f32_16x16x32_fp8_fp8 v[8:11], a[80:81], a[24:25], 0 // 00000000B26C: D3F30008 1A023150
	buffer_load_dwordx4 a[160:163], v52, s[84:87], 0 offen     // 00000000B274: E05C1000 8095A034
	v_mfma_f32_16x16x32_fp8_fp8 v[8:11], a[82:83], a[26:27], v[8:11]// 00000000B27C: D3F30008 1C223552
	v_mfma_f32_16x16x32_fp8_fp8 v[8:11], a[84:85], a[28:29], v[8:11]// 00000000B284: D3F30008 1C223954
	v_mfma_f32_16x16x32_fp8_fp8 v[8:11], a[86:87], a[30:31], v[8:11]// 00000000B28C: D3F30008 1C223D56
	v_fma_f32 v100, v12, v6, v100                              // 00000000B294: D1CB0064 05920D0C
	v_fma_f32 v101, v13, v6, v101                              // 00000000B29C: D1CB0065 05960D0D
	v_fma_f32 v102, v14, v6, v102                              // 00000000B2A4: D1CB0066 059A0D0E
	v_fma_f32 v103, v15, v6, v103                              // 00000000B2AC: D1CB0067 059E0D0F
	v_mul_f32_dpp v6, v24, v38 row_newbcast:2 row_mask:0xf bank_mask:0xf// 00000000B2B4: 0A0C4CFA FF015218
	v_mfma_f32_16x16x32_fp8_fp8 v[12:15], a[80:81], a[32:33], 0// 00000000B2BC: D3F3000C 1A024150
	buffer_load_dwordx4 a[164:167], v52, s[84:87], 0 offen offset:1024// 00000000B2C4: E05C1400 8095A434
	v_mfma_f32_16x16x32_fp8_fp8 v[12:15], a[82:83], a[34:35], v[12:15]// 00000000B2CC: D3F3000C 1C324552
	v_mfma_f32_16x16x32_fp8_fp8 v[12:15], a[84:85], a[36:37], v[12:15]// 00000000B2D4: D3F3000C 1C324954
	v_mfma_f32_16x16x32_fp8_fp8 v[12:15], a[86:87], a[38:39], v[12:15]// 00000000B2DC: D3F3000C 1C324D56
	v_fma_f32 v104, v8, v4, v104                               // 00000000B2E4: D1CB0068 05A20908
	v_fma_f32 v105, v9, v4, v105                               // 00000000B2EC: D1CB0069 05A60909
	v_fma_f32 v106, v10, v4, v106                              // 00000000B2F4: D1CB006A 05AA090A
	v_fma_f32 v107, v11, v4, v107                              // 00000000B2FC: D1CB006B 05AE090B
	v_mul_f32_dpp v4, v24, v39 row_newbcast:2 row_mask:0xf bank_mask:0xf// 00000000B304: 0A084EFA FF015218
	v_mfma_f32_16x16x32_fp8_fp8 v[8:11], a[80:81], a[40:41], 0 // 00000000B30C: D3F30008 1A025150
	buffer_load_dwordx4 a[168:171], v53, s[84:87], 0 offen     // 00000000B314: E05C1000 8095A835
	v_mfma_f32_16x16x32_fp8_fp8 v[8:11], a[82:83], a[42:43], v[8:11]// 00000000B31C: D3F30008 1C225552
	v_mfma_f32_16x16x32_fp8_fp8 v[8:11], a[84:85], a[44:45], v[8:11]// 00000000B324: D3F30008 1C225954
	v_mfma_f32_16x16x32_fp8_fp8 v[8:11], a[86:87], a[46:47], v[8:11]// 00000000B32C: D3F30008 1C225D56
	v_fma_f32 v108, v12, v6, v108                              // 00000000B334: D1CB006C 05B20D0C
	v_fma_f32 v109, v13, v6, v109                              // 00000000B33C: D1CB006D 05B60D0D
	v_fma_f32 v110, v14, v6, v110                              // 00000000B344: D1CB006E 05BA0D0E
	v_fma_f32 v111, v15, v6, v111                              // 00000000B34C: D1CB006F 05BE0D0F
	s_waitcnt vmcnt(20)                                        // 00000000B354: BF8C4F74
	v_mul_f32_dpp v6, v24, v37 row_newbcast:2 row_mask:0xf bank_mask:0xf// 00000000B358: 0A0C4AFA FF015218
	v_mfma_f32_16x16x32_fp8_fp8 v[12:15], a[88:89], a[24:25], 0// 00000000B360: D3F3000C 1A023158
	buffer_load_dwordx4 a[172:175], v53, s[84:87], 0 offen offset:1024// 00000000B368: E05C1400 8095AC35
	buffer_load_dword v40, s[20:23], 0 offen lds               // 00000000B370: E0511000 80050028
	s_add_u32 m0, 0x100, s49                                   // 00000000B378: 807C31FF 00000100
	v_mfma_f32_16x16x32_fp8_fp8 v[12:15], a[90:91], a[26:27], v[12:15]// 00000000B380: D3F3000C 1C32355A
	v_mfma_f32_16x16x32_fp8_fp8 v[12:15], a[92:93], a[28:29], v[12:15]// 00000000B388: D3F3000C 1C32395C
	buffer_load_dword v41, s[20:23], 0 offen lds               // 00000000B390: E0511000 80050029
	s_add_u32 m0, 0x200, s49                                   // 00000000B398: 807C31FF 00000200
	v_mfma_f32_16x16x32_fp8_fp8 v[12:15], a[94:95], a[30:31], v[12:15]// 00000000B3A0: D3F3000C 1C323D5E
	v_fma_f32 v112, v8, v4, v112                               // 00000000B3A8: D1CB0070 05C20908
	v_fma_f32 v113, v9, v4, v113                               // 00000000B3B0: D1CB0071 05C60909
	v_fma_f32 v114, v10, v4, v114                              // 00000000B3B8: D1CB0072 05CA090A
	v_fma_f32 v115, v11, v4, v115                              // 00000000B3C0: D1CB0073 05CE090B
	v_mul_f32_dpp v4, v24, v38 row_newbcast:2 row_mask:0xf bank_mask:0xf// 00000000B3C8: 0A084CFA FF015218
	v_mfma_f32_16x16x32_fp8_fp8 v[8:11], a[88:89], a[32:33], 0 // 00000000B3D0: D3F30008 1A024158
	buffer_load_dword v42, s[20:23], 0 offen lds               // 00000000B3D8: E0511000 8005002A
	s_add_u32 m0, 0x300, s49                                   // 00000000B3E0: 807C31FF 00000300
	v_mfma_f32_16x16x32_fp8_fp8 v[8:11], a[90:91], a[34:35], v[8:11]// 00000000B3E8: D3F30008 1C22455A
	v_mfma_f32_16x16x32_fp8_fp8 v[8:11], a[92:93], a[36:37], v[8:11]// 00000000B3F0: D3F30008 1C22495C
	buffer_load_dword v43, s[20:23], 0 offen lds               // 00000000B3F8: E0511000 8005002B
	s_add_u32 m0, 0x400, s49                                   // 00000000B400: 807C31FF 00000400
	v_mfma_f32_16x16x32_fp8_fp8 v[8:11], a[94:95], a[38:39], v[8:11]// 00000000B408: D3F30008 1C224D5E
	v_fma_f32 v116, v12, v6, v116                              // 00000000B410: D1CB0074 05D20D0C
	v_fma_f32 v117, v13, v6, v117                              // 00000000B418: D1CB0075 05D60D0D
	v_fma_f32 v118, v14, v6, v118                              // 00000000B420: D1CB0076 05DA0D0E
	v_fma_f32 v119, v15, v6, v119                              // 00000000B428: D1CB0077 05DE0D0F
	v_mul_f32_dpp v6, v24, v39 row_newbcast:2 row_mask:0xf bank_mask:0xf// 00000000B430: 0A0C4EFA FF015218
	v_mfma_f32_16x16x32_fp8_fp8 v[12:15], a[88:89], a[40:41], 0// 00000000B438: D3F3000C 1A025158
	buffer_load_dword v44, s[20:23], 0 offen lds               // 00000000B440: E0511000 8005002C
	s_add_u32 m0, 0x500, s49                                   // 00000000B448: 807C31FF 00000500
	v_mfma_f32_16x16x32_fp8_fp8 v[12:15], a[90:91], a[42:43], v[12:15]// 00000000B450: D3F3000C 1C32555A
	v_mfma_f32_16x16x32_fp8_fp8 v[12:15], a[92:93], a[44:45], v[12:15]// 00000000B458: D3F3000C 1C32595C
	buffer_load_dword v45, s[20:23], 0 offen lds               // 00000000B460: E0511000 8005002D
	s_add_u32 m0, 0, s48                                       // 00000000B468: 807C3080
	v_mfma_f32_16x16x32_fp8_fp8 v[12:15], a[94:95], a[46:47], v[12:15]// 00000000B46C: D3F3000C 1C325D5E
	v_fma_f32 v120, v8, v4, v120                               // 00000000B474: D1CB0078 05E20908
	v_fma_f32 v121, v9, v4, v121                               // 00000000B47C: D1CB0079 05E60909
	v_fma_f32 v122, v10, v4, v122                              // 00000000B484: D1CB007A 05EA090A
	v_fma_f32 v123, v11, v4, v123                              // 00000000B48C: D1CB007B 05EE090B
	s_waitcnt vmcnt(25)                                        // 00000000B494: BF8C4F79
	v_mul_f32_dpp v4, v24, v37 row_newbcast:3 row_mask:0xf bank_mask:0xf// 00000000B498: 0A084AFA FF015318
	v_mfma_f32_16x16x32_fp8_fp8 v[8:11], a[96:97], a[24:25], 0 // 00000000B4A0: D3F30008 1A023160
	buffer_load_dword v34, v28, s[28:31], 0 offen              // 00000000B4A8: E0501000 8007221C
	v_mfma_f32_16x16x32_fp8_fp8 v[8:11], a[98:99], a[26:27], v[8:11]// 00000000B4B0: D3F30008 1C223562
	v_mfma_f32_16x16x32_fp8_fp8 v[8:11], a[100:101], a[28:29], v[8:11]// 00000000B4B8: D3F30008 1C223964
	buffer_load_dword v35, v29, s[28:31], 0 offen              // 00000000B4C0: E0501000 8007231D
	v_mfma_f32_16x16x32_fp8_fp8 v[8:11], a[102:103], a[30:31], v[8:11]// 00000000B4C8: D3F30008 1C223D66
	v_fma_f32 v124, v12, v6, v124                              // 00000000B4D0: D1CB007C 05F20D0C
	v_fma_f32 v125, v13, v6, v125                              // 00000000B4D8: D1CB007D 05F60D0D
	v_fma_f32 v126, v14, v6, v126                              // 00000000B4E0: D1CB007E 05FA0D0E
	v_fma_f32 v127, v15, v6, v127                              // 00000000B4E8: D1CB007F 05FE0D0F
	v_mul_f32_dpp v6, v24, v38 row_newbcast:3 row_mask:0xf bank_mask:0xf// 00000000B4F0: 0A0C4CFA FF015318
	v_mfma_f32_16x16x32_fp8_fp8 v[12:15], a[96:97], a[32:33], 0// 00000000B4F8: D3F3000C 1A024160
	buffer_load_dword v36, v30, s[28:31], 0 offen              // 00000000B500: E0501000 8007241E
	v_mfma_f32_16x16x32_fp8_fp8 v[12:15], a[98:99], a[34:35], v[12:15]// 00000000B508: D3F3000C 1C324562
	v_mfma_f32_16x16x32_fp8_fp8 v[12:15], a[100:101], a[36:37], v[12:15]// 00000000B510: D3F3000C 1C324964
	v_mfma_f32_16x16x32_fp8_fp8 v[12:15], a[102:103], a[38:39], v[12:15]// 00000000B518: D3F3000C 1C324D66
	v_fma_f32 v128, v8, v4, v128                               // 00000000B520: D1CB0080 06020908
	v_fma_f32 v129, v9, v4, v129                               // 00000000B528: D1CB0081 06060909
	v_fma_f32 v130, v10, v4, v130                              // 00000000B530: D1CB0082 060A090A
	v_fma_f32 v131, v11, v4, v131                              // 00000000B538: D1CB0083 060E090B
	v_mul_f32_dpp v4, v24, v39 row_newbcast:3 row_mask:0xf bank_mask:0xf// 00000000B540: 0A084EFA FF015318
	v_mfma_f32_16x16x32_fp8_fp8 v[8:11], a[96:97], a[40:41], 0 // 00000000B548: D3F30008 1A025160
	v_mfma_f32_16x16x32_fp8_fp8 v[8:11], a[98:99], a[42:43], v[8:11]// 00000000B550: D3F30008 1C225562
	v_mfma_f32_16x16x32_fp8_fp8 v[8:11], a[100:101], a[44:45], v[8:11]// 00000000B558: D3F30008 1C225964
	v_mfma_f32_16x16x32_fp8_fp8 v[8:11], a[102:103], a[46:47], v[8:11]// 00000000B560: D3F30008 1C225D66
	v_fma_f32 v132, v12, v6, v132                              // 00000000B568: D1CB0084 06120D0C
	v_fma_f32 v133, v13, v6, v133                              // 00000000B570: D1CB0085 06160D0D
	v_fma_f32 v134, v14, v6, v134                              // 00000000B578: D1CB0086 061A0D0E
	v_fma_f32 v135, v15, v6, v135                              // 00000000B580: D1CB0087 061E0D0F
	s_waitcnt vmcnt(26)                                        // 00000000B588: BF8C4F7A
	v_mul_f32_dpp v6, v24, v37 row_newbcast:3 row_mask:0xf bank_mask:0xf// 00000000B58C: 0A0C4AFA FF015318
	v_mfma_f32_16x16x32_fp8_fp8 v[12:15], a[104:105], a[24:25], 0// 00000000B594: D3F3000C 1A023168
	v_mfma_f32_16x16x32_fp8_fp8 v[12:15], a[106:107], a[26:27], v[12:15]// 00000000B59C: D3F3000C 1C32356A
	v_mfma_f32_16x16x32_fp8_fp8 v[12:15], a[108:109], a[28:29], v[12:15]// 00000000B5A4: D3F3000C 1C32396C
	v_mfma_f32_16x16x32_fp8_fp8 v[12:15], a[110:111], a[30:31], v[12:15]// 00000000B5AC: D3F3000C 1C323D6E
	v_fma_f32 v136, v8, v4, v136                               // 00000000B5B4: D1CB0088 06220908
	v_fma_f32 v137, v9, v4, v137                               // 00000000B5BC: D1CB0089 06260909
	v_fma_f32 v138, v10, v4, v138                              // 00000000B5C4: D1CB008A 062A090A
	v_fma_f32 v139, v11, v4, v139                              // 00000000B5CC: D1CB008B 062E090B
	v_mul_f32_dpp v4, v24, v38 row_newbcast:3 row_mask:0xf bank_mask:0xf// 00000000B5D4: 0A084CFA FF015318
	v_mfma_f32_16x16x32_fp8_fp8 v[8:11], a[104:105], a[32:33], 0// 00000000B5DC: D3F30008 1A024168
	v_mfma_f32_16x16x32_fp8_fp8 v[8:11], a[106:107], a[34:35], v[8:11]// 00000000B5E4: D3F30008 1C22456A
	v_mfma_f32_16x16x32_fp8_fp8 v[8:11], a[108:109], a[36:37], v[8:11]// 00000000B5EC: D3F30008 1C22496C
	v_mfma_f32_16x16x32_fp8_fp8 v[8:11], a[110:111], a[38:39], v[8:11]// 00000000B5F4: D3F30008 1C224D6E
	v_fma_f32 v140, v12, v6, v140                              // 00000000B5FC: D1CB008C 06320D0C
	v_fma_f32 v141, v13, v6, v141                              // 00000000B604: D1CB008D 06360D0D
	v_fma_f32 v142, v14, v6, v142                              // 00000000B60C: D1CB008E 063A0D0E
	v_fma_f32 v143, v15, v6, v143                              // 00000000B614: D1CB008F 063E0D0F
	v_mul_f32_dpp v6, v24, v39 row_newbcast:3 row_mask:0xf bank_mask:0xf// 00000000B61C: 0A0C4EFA FF015318
	v_mfma_f32_16x16x32_fp8_fp8 v[12:15], a[104:105], a[40:41], 0// 00000000B624: D3F3000C 1A025168
	v_mfma_f32_16x16x32_fp8_fp8 v[12:15], a[106:107], a[42:43], v[12:15]// 00000000B62C: D3F3000C 1C32556A
	s_add_u32 s60, 0x80, s80                                   // 00000000B634: 803C50FF 00000080
	s_cmp_lt_u32 s60, s81                                      // 00000000B63C: BF0A513C
	s_cselect_b32 s83, s83, 0                                  // 00000000B640: 85538053
	s_cselect_b32 s4, s4, 0                                    // 00000000B644: 85048004
	v_mfma_f32_16x16x32_fp8_fp8 v[12:15], a[108:109], a[44:45], v[12:15]// 00000000B648: D3F3000C 1C32596C
	s_add_u32 s32, s4, s32                                     // 00000000B650: 80202004
	s_addc_u32 s33, 0, s33                                     // 00000000B654: 82212180
	v_mfma_f32_16x16x32_fp8_fp8 v[12:15], a[110:111], a[46:47], v[12:15]// 00000000B658: D3F3000C 1C325D6E
	v_fma_f32 v144, v8, v4, v144                               // 00000000B660: D1CB0090 06420908
	v_fma_f32 v145, v9, v4, v145                               // 00000000B668: D1CB0091 06460909
	v_fma_f32 v146, v10, v4, v146                              // 00000000B670: D1CB0092 064A090A
	v_fma_f32 v147, v11, v4, v147                              // 00000000B678: D1CB0093 064E090B
	v_fma_f32 v148, v12, v6, v148                              // 00000000B680: D1CB0094 06520D0C
	v_fma_f32 v149, v13, v6, v149                              // 00000000B688: D1CB0095 06560D0D
	v_fma_f32 v150, v14, v6, v150                              // 00000000B690: D1CB0096 065A0D0E
	v_fma_f32 v151, v15, v6, v151                              // 00000000B698: D1CB0097 065E0D0F
	s_waitcnt vmcnt(9)                                         // 00000000B6A0: BF8C0F79
	v_mul_f32_dpp v4, v27, v37 row_newbcast:0 row_mask:0xf bank_mask:0xf// 00000000B6A4: 0A084AFA FF01501B
	v_mfma_f32_16x16x32_fp8_fp8 v[8:11], a[112:113], a[24:25], 0// 00000000B6AC: D3F30008 1A023170
	buffer_load_dword v24, v22, s[32:35], 0 offen              // 00000000B6B4: E0501000 80081816
	buffer_load_dwordx4 a[48:51], v46, s[24:27], 0 offen       // 00000000B6BC: E05C1000 8086302E
	v_mfma_f32_16x16x32_fp8_fp8 v[8:11], a[114:115], a[26:27], v[8:11]// 00000000B6C4: D3F30008 1C223572
	v_mfma_f32_16x16x32_fp8_fp8 v[8:11], a[116:117], a[28:29], v[8:11]// 00000000B6CC: D3F30008 1C223974
	ds_read_b128 a[0:3], v2                                    // 00000000B6D4: DBFE0000 00000002
	ds_read_b128 a[4:7], v2 offset:64                          // 00000000B6DC: DBFE0040 04000002
	v_mfma_f32_16x16x32_fp8_fp8 v[8:11], a[118:119], a[30:31], v[8:11]// 00000000B6E4: D3F30008 1C223D76
	v_mfma_f32_16x16x32_fp8_fp8 v[12:15], a[120:121], a[24:25], 0// 00000000B6EC: D3F3000C 1A023178
	buffer_load_dwordx4 a[52:55], v46, s[24:27], 0 offen offset:1024// 00000000B6F4: E05C1400 8086342E
	v_mfma_f32_16x16x32_fp8_fp8 v[12:15], a[122:123], a[26:27], v[12:15]// 00000000B6FC: D3F3000C 1C32357A
	v_mfma_f32_16x16x32_fp8_fp8 v[12:15], a[124:125], a[28:29], v[12:15]// 00000000B704: D3F3000C 1C32397C
	ds_read_b128 a[8:11], v2 offset:512                        // 00000000B70C: DBFE0200 08000002
	ds_read_b128 a[12:15], v2 offset:576                       // 00000000B714: DBFE0240 0C000002
	v_mfma_f32_16x16x32_fp8_fp8 v[12:15], a[126:127], a[30:31], v[12:15]// 00000000B71C: D3F3000C 1C323D7E
	v_fma_f32 v152, v8, v4, v152                               // 00000000B724: D1CB0098 06620908
	v_fma_f32 v153, v9, v4, v153                               // 00000000B72C: D1CB0099 06660909
	v_fma_f32 v154, v10, v4, v154                              // 00000000B734: D1CB009A 066A090A
	v_fma_f32 v155, v11, v4, v155                              // 00000000B73C: D1CB009B 066E090B
	v_mul_f32_dpp v6, v27, v37 row_newbcast:1 row_mask:0xf bank_mask:0xf// 00000000B744: 0A0C4AFA FF01511B
	v_mfma_f32_16x16x32_fp8_fp8 v[8:11], a[128:129], a[24:25], 0// 00000000B74C: D3F30008 1A023180
	buffer_load_dwordx4 a[56:59], v47, s[24:27], 0 offen       // 00000000B754: E05C1000 8086382F
	v_mfma_f32_16x16x32_fp8_fp8 v[8:11], a[130:131], a[26:27], v[8:11]// 00000000B75C: D3F30008 1C223582
	v_mfma_f32_16x16x32_fp8_fp8 v[8:11], a[132:133], a[28:29], v[8:11]// 00000000B764: D3F30008 1C223984
	ds_read_b128 a[16:19], v2 offset:1024                      // 00000000B76C: DBFE0400 10000002
	ds_read_b128 a[20:23], v2 offset:1088                      // 00000000B774: DBFE0440 14000002
	v_mfma_f32_16x16x32_fp8_fp8 v[8:11], a[134:135], a[30:31], v[8:11]// 00000000B77C: D3F30008 1C223D86
	v_fma_f32 v164, v12, v4, v164                              // 00000000B784: D1CB00A4 0692090C
	v_fma_f32 v165, v13, v4, v165                              // 00000000B78C: D1CB00A5 0696090D
	v_fma_f32 v166, v14, v4, v166                              // 00000000B794: D1CB00A6 069A090E
	v_fma_f32 v167, v15, v4, v167                              // 00000000B79C: D1CB00A7 069E090F
	v_mfma_f32_16x16x32_fp8_fp8 v[12:15], a[136:137], a[24:25], 0// 00000000B7A4: D3F3000C 1A023188
	buffer_load_dwordx4 a[60:63], v47, s[24:27], 0 offen offset:1024// 00000000B7AC: E05C1400 80863C2F
	v_mfma_f32_16x16x32_fp8_fp8 v[12:15], a[138:139], a[26:27], v[12:15]// 00000000B7B4: D3F3000C 1C32358A
	v_mfma_f32_16x16x32_fp8_fp8 v[12:15], a[140:141], a[28:29], v[12:15]// 00000000B7BC: D3F3000C 1C32398C
	v_mfma_f32_16x16x32_fp8_fp8 v[12:15], a[142:143], a[30:31], v[12:15]// 00000000B7C4: D3F3000C 1C323D8E
	v_fma_f32 v176, v8, v6, v176                               // 00000000B7CC: D1CB00B0 06C20D08
	v_fma_f32 v177, v9, v6, v177                               // 00000000B7D4: D1CB00B1 06C60D09
	v_fma_f32 v178, v10, v6, v178                              // 00000000B7DC: D1CB00B2 06CA0D0A
	v_fma_f32 v179, v11, v6, v179                              // 00000000B7E4: D1CB00B3 06CE0D0B
	v_mul_f32_dpp v4, v27, v37 row_newbcast:2 row_mask:0xf bank_mask:0xf// 00000000B7EC: 0A084AFA FF01521B
	v_mfma_f32_16x16x32_fp8_fp8 v[8:11], a[144:145], a[24:25], 0// 00000000B7F4: D3F30008 1A023190
	buffer_load_dwordx4 a[64:67], v48, s[24:27], 0 offen       // 00000000B7FC: E05C1000 80864030
	v_mfma_f32_16x16x32_fp8_fp8 v[8:11], a[146:147], a[26:27], v[8:11]// 00000000B804: D3F30008 1C223592
	v_mfma_f32_16x16x32_fp8_fp8 v[8:11], a[148:149], a[28:29], v[8:11]// 00000000B80C: D3F30008 1C223994
	v_mfma_f32_16x16x32_fp8_fp8 v[8:11], a[150:151], a[30:31], v[8:11]// 00000000B814: D3F30008 1C223D96
	v_fma_f32 v188, v12, v6, v188                              // 00000000B81C: D1CB00BC 06F20D0C
	v_fma_f32 v189, v13, v6, v189                              // 00000000B824: D1CB00BD 06F60D0D
	v_fma_f32 v190, v14, v6, v190                              // 00000000B82C: D1CB00BE 06FA0D0E
	v_fma_f32 v191, v15, v6, v191                              // 00000000B834: D1CB00BF 06FE0D0F
	v_mfma_f32_16x16x32_fp8_fp8 v[12:15], a[152:153], a[24:25], 0// 00000000B83C: D3F3000C 1A023198
	buffer_load_dwordx4 a[68:71], v48, s[24:27], 0 offen offset:1024// 00000000B844: E05C1400 80864430
	v_mfma_f32_16x16x32_fp8_fp8 v[12:15], a[154:155], a[26:27], v[12:15]// 00000000B84C: D3F3000C 1C32359A
	v_mfma_f32_16x16x32_fp8_fp8 v[12:15], a[156:157], a[28:29], v[12:15]// 00000000B854: D3F3000C 1C32399C
	v_mfma_f32_16x16x32_fp8_fp8 v[12:15], a[158:159], a[30:31], v[12:15]// 00000000B85C: D3F3000C 1C323D9E
	v_fma_f32 v200, v8, v4, v200                               // 00000000B864: D1CB00C8 07220908
	v_fma_f32 v201, v9, v4, v201                               // 00000000B86C: D1CB00C9 07260909
	v_fma_f32 v202, v10, v4, v202                              // 00000000B874: D1CB00CA 072A090A
	v_fma_f32 v203, v11, v4, v203                              // 00000000B87C: D1CB00CB 072E090B
	v_mul_f32_dpp v6, v27, v37 row_newbcast:3 row_mask:0xf bank_mask:0xf// 00000000B884: 0A0C4AFA FF01531B
	v_mfma_f32_16x16x32_fp8_fp8 v[8:11], a[160:161], a[24:25], 0// 00000000B88C: D3F30008 1A0231A0
	buffer_load_dwordx4 a[72:75], v49, s[24:27], 0 offen       // 00000000B894: E05C1000 80864831
	v_mfma_f32_16x16x32_fp8_fp8 v[8:11], a[162:163], a[26:27], v[8:11]// 00000000B89C: D3F30008 1C2235A2
	v_mfma_f32_16x16x32_fp8_fp8 v[8:11], a[164:165], a[28:29], v[8:11]// 00000000B8A4: D3F30008 1C2239A4
	v_mfma_f32_16x16x32_fp8_fp8 v[8:11], a[166:167], a[30:31], v[8:11]// 00000000B8AC: D3F30008 1C223DA6
	v_fma_f32 v212, v12, v4, v212                              // 00000000B8B4: D1CB00D4 0752090C
	v_fma_f32 v213, v13, v4, v213                              // 00000000B8BC: D1CB00D5 0756090D
	v_fma_f32 v214, v14, v4, v214                              // 00000000B8C4: D1CB00D6 075A090E
	v_fma_f32 v215, v15, v4, v215                              // 00000000B8CC: D1CB00D7 075E090F
	v_mfma_f32_16x16x32_fp8_fp8 v[12:15], a[168:169], a[24:25], 0// 00000000B8D4: D3F3000C 1A0231A8
	buffer_load_dwordx4 a[76:79], v49, s[24:27], 0 offen offset:1024// 00000000B8DC: E05C1400 80864C31
	v_mfma_f32_16x16x32_fp8_fp8 v[12:15], a[170:171], a[26:27], v[12:15]// 00000000B8E4: D3F3000C 1C3235AA
	v_mfma_f32_16x16x32_fp8_fp8 v[12:15], a[172:173], a[28:29], v[12:15]// 00000000B8EC: D3F3000C 1C3239AC
	v_mfma_f32_16x16x32_fp8_fp8 v[12:15], a[174:175], a[30:31], v[12:15]// 00000000B8F4: D3F3000C 1C323DAE
	v_fma_f32 v224, v8, v6, v224                               // 00000000B8FC: D1CB00E0 07820D08
	v_fma_f32 v225, v9, v6, v225                               // 00000000B904: D1CB00E1 07860D09
	v_fma_f32 v226, v10, v6, v226                              // 00000000B90C: D1CB00E2 078A0D0A
	v_fma_f32 v227, v11, v6, v227                              // 00000000B914: D1CB00E3 078E0D0B
	v_mul_f32_dpp v4, v27, v38 row_newbcast:0 row_mask:0xf bank_mask:0xf// 00000000B91C: 0A084CFA FF01501B
	v_mfma_f32_16x16x32_fp8_fp8 v[8:11], a[112:113], a[32:33], 0// 00000000B924: D3F30008 1A024170
	buffer_load_dwordx4 a[80:83], v50, s[24:27], 0 offen       // 00000000B92C: E05C1000 80865032
	v_mfma_f32_16x16x32_fp8_fp8 v[8:11], a[114:115], a[34:35], v[8:11]// 00000000B934: D3F30008 1C224572
	v_mfma_f32_16x16x32_fp8_fp8 v[8:11], a[116:117], a[36:37], v[8:11]// 00000000B93C: D3F30008 1C224974
	v_mfma_f32_16x16x32_fp8_fp8 v[8:11], a[118:119], a[38:39], v[8:11]// 00000000B944: D3F30008 1C224D76
	v_fma_f32 v236, v12, v6, v236                              // 00000000B94C: D1CB00EC 07B20D0C
	v_fma_f32 v237, v13, v6, v237                              // 00000000B954: D1CB00ED 07B60D0D
	v_fma_f32 v238, v14, v6, v238                              // 00000000B95C: D1CB00EE 07BA0D0E
	v_fma_f32 v239, v15, v6, v239                              // 00000000B964: D1CB00EF 07BE0D0F
	v_mfma_f32_16x16x32_fp8_fp8 v[12:15], a[120:121], a[32:33], 0// 00000000B96C: D3F3000C 1A024178
	buffer_load_dwordx4 a[84:87], v50, s[24:27], 0 offen offset:1024// 00000000B974: E05C1400 80865432
	v_mfma_f32_16x16x32_fp8_fp8 v[12:15], a[122:123], a[34:35], v[12:15]// 00000000B97C: D3F3000C 1C32457A
	v_mfma_f32_16x16x32_fp8_fp8 v[12:15], a[124:125], a[36:37], v[12:15]// 00000000B984: D3F3000C 1C32497C
	v_mfma_f32_16x16x32_fp8_fp8 v[12:15], a[126:127], a[38:39], v[12:15]// 00000000B98C: D3F3000C 1C324D7E
	v_fma_f32 v156, v8, v4, v156                               // 00000000B994: D1CB009C 06720908
	v_fma_f32 v157, v9, v4, v157                               // 00000000B99C: D1CB009D 06760909
	v_fma_f32 v158, v10, v4, v158                              // 00000000B9A4: D1CB009E 067A090A
	v_fma_f32 v159, v11, v4, v159                              // 00000000B9AC: D1CB009F 067E090B
	v_mul_f32_dpp v6, v27, v38 row_newbcast:1 row_mask:0xf bank_mask:0xf// 00000000B9B4: 0A0C4CFA FF01511B
	v_mfma_f32_16x16x32_fp8_fp8 v[8:11], a[128:129], a[32:33], 0// 00000000B9BC: D3F30008 1A024180
	buffer_load_dwordx4 a[88:91], v51, s[24:27], 0 offen       // 00000000B9C4: E05C1000 80865833
	v_mfma_f32_16x16x32_fp8_fp8 v[8:11], a[130:131], a[34:35], v[8:11]// 00000000B9CC: D3F30008 1C224582
	v_mfma_f32_16x16x32_fp8_fp8 v[8:11], a[132:133], a[36:37], v[8:11]// 00000000B9D4: D3F30008 1C224984
	v_mfma_f32_16x16x32_fp8_fp8 v[8:11], a[134:135], a[38:39], v[8:11]// 00000000B9DC: D3F30008 1C224D86
	v_fma_f32 v168, v12, v4, v168                              // 00000000B9E4: D1CB00A8 06A2090C
	v_fma_f32 v169, v13, v4, v169                              // 00000000B9EC: D1CB00A9 06A6090D
	v_fma_f32 v170, v14, v4, v170                              // 00000000B9F4: D1CB00AA 06AA090E
	v_fma_f32 v171, v15, v4, v171                              // 00000000B9FC: D1CB00AB 06AE090F
	v_mfma_f32_16x16x32_fp8_fp8 v[12:15], a[136:137], a[32:33], 0// 00000000BA04: D3F3000C 1A024188
	buffer_load_dwordx4 a[92:95], v51, s[24:27], 0 offen offset:1024// 00000000BA0C: E05C1400 80865C33
	v_mfma_f32_16x16x32_fp8_fp8 v[12:15], a[138:139], a[34:35], v[12:15]// 00000000BA14: D3F3000C 1C32458A
	v_mfma_f32_16x16x32_fp8_fp8 v[12:15], a[140:141], a[36:37], v[12:15]// 00000000BA1C: D3F3000C 1C32498C
	v_mfma_f32_16x16x32_fp8_fp8 v[12:15], a[142:143], a[38:39], v[12:15]// 00000000BA24: D3F3000C 1C324D8E
	v_fma_f32 v180, v8, v6, v180                               // 00000000BA2C: D1CB00B4 06D20D08
	v_fma_f32 v181, v9, v6, v181                               // 00000000BA34: D1CB00B5 06D60D09
	v_fma_f32 v182, v10, v6, v182                              // 00000000BA3C: D1CB00B6 06DA0D0A
	v_fma_f32 v183, v11, v6, v183                              // 00000000BA44: D1CB00B7 06DE0D0B
	v_mul_f32_dpp v4, v27, v38 row_newbcast:2 row_mask:0xf bank_mask:0xf// 00000000BA4C: 0A084CFA FF01521B
	v_mfma_f32_16x16x32_fp8_fp8 v[8:11], a[144:145], a[32:33], 0// 00000000BA54: D3F30008 1A024190
	buffer_load_dwordx4 a[96:99], v52, s[24:27], 0 offen       // 00000000BA5C: E05C1000 80866034
	v_mfma_f32_16x16x32_fp8_fp8 v[8:11], a[146:147], a[34:35], v[8:11]// 00000000BA64: D3F30008 1C224592
	v_mfma_f32_16x16x32_fp8_fp8 v[8:11], a[148:149], a[36:37], v[8:11]// 00000000BA6C: D3F30008 1C224994
	v_mfma_f32_16x16x32_fp8_fp8 v[8:11], a[150:151], a[38:39], v[8:11]// 00000000BA74: D3F30008 1C224D96
	v_fma_f32 v192, v12, v6, v192                              // 00000000BA7C: D1CB00C0 07020D0C
	v_fma_f32 v193, v13, v6, v193                              // 00000000BA84: D1CB00C1 07060D0D
	v_fma_f32 v194, v14, v6, v194                              // 00000000BA8C: D1CB00C2 070A0D0E
	v_fma_f32 v195, v15, v6, v195                              // 00000000BA94: D1CB00C3 070E0D0F
	v_mfma_f32_16x16x32_fp8_fp8 v[12:15], a[152:153], a[32:33], 0// 00000000BA9C: D3F3000C 1A024198
	buffer_load_dwordx4 a[100:103], v52, s[24:27], 0 offen offset:1024// 00000000BAA4: E05C1400 80866434
	v_mfma_f32_16x16x32_fp8_fp8 v[12:15], a[154:155], a[34:35], v[12:15]// 00000000BAAC: D3F3000C 1C32459A
	v_mfma_f32_16x16x32_fp8_fp8 v[12:15], a[156:157], a[36:37], v[12:15]// 00000000BAB4: D3F3000C 1C32499C
	v_mfma_f32_16x16x32_fp8_fp8 v[12:15], a[158:159], a[38:39], v[12:15]// 00000000BABC: D3F3000C 1C324D9E
	v_fma_f32 v204, v8, v4, v204                               // 00000000BAC4: D1CB00CC 07320908
	v_fma_f32 v205, v9, v4, v205                               // 00000000BACC: D1CB00CD 07360909
	v_fma_f32 v206, v10, v4, v206                              // 00000000BAD4: D1CB00CE 073A090A
	v_fma_f32 v207, v11, v4, v207                              // 00000000BADC: D1CB00CF 073E090B
	v_mul_f32_dpp v6, v27, v38 row_newbcast:3 row_mask:0xf bank_mask:0xf// 00000000BAE4: 0A0C4CFA FF01531B
	v_mfma_f32_16x16x32_fp8_fp8 v[8:11], a[160:161], a[32:33], 0// 00000000BAEC: D3F30008 1A0241A0
	buffer_load_dwordx4 a[104:107], v53, s[24:27], 0 offen     // 00000000BAF4: E05C1000 80866835
	v_mfma_f32_16x16x32_fp8_fp8 v[8:11], a[162:163], a[34:35], v[8:11]// 00000000BAFC: D3F30008 1C2245A2
	v_mfma_f32_16x16x32_fp8_fp8 v[8:11], a[164:165], a[36:37], v[8:11]// 00000000BB04: D3F30008 1C2249A4
	v_mfma_f32_16x16x32_fp8_fp8 v[8:11], a[166:167], a[38:39], v[8:11]// 00000000BB0C: D3F30008 1C224DA6
	v_fma_f32 v216, v12, v4, v216                              // 00000000BB14: D1CB00D8 0762090C
	v_fma_f32 v217, v13, v4, v217                              // 00000000BB1C: D1CB00D9 0766090D
	v_fma_f32 v218, v14, v4, v218                              // 00000000BB24: D1CB00DA 076A090E
	v_fma_f32 v219, v15, v4, v219                              // 00000000BB2C: D1CB00DB 076E090F
	v_mfma_f32_16x16x32_fp8_fp8 v[12:15], a[168:169], a[32:33], 0// 00000000BB34: D3F3000C 1A0241A8
	buffer_load_dwordx4 a[108:111], v53, s[24:27], 0 offen offset:1024// 00000000BB3C: E05C1400 80866C35
	v_mfma_f32_16x16x32_fp8_fp8 v[12:15], a[170:171], a[34:35], v[12:15]// 00000000BB44: D3F3000C 1C3245AA
	v_mfma_f32_16x16x32_fp8_fp8 v[12:15], a[172:173], a[36:37], v[12:15]// 00000000BB4C: D3F3000C 1C3249AC
	v_mfma_f32_16x16x32_fp8_fp8 v[12:15], a[174:175], a[38:39], v[12:15]// 00000000BB54: D3F3000C 1C324DAE
	v_fma_f32 v228, v8, v6, v228                               // 00000000BB5C: D1CB00E4 07920D08
	v_fma_f32 v229, v9, v6, v229                               // 00000000BB64: D1CB00E5 07960D09
	v_fma_f32 v230, v10, v6, v230                              // 00000000BB6C: D1CB00E6 079A0D0A
	v_fma_f32 v231, v11, v6, v231                              // 00000000BB74: D1CB00E7 079E0D0B
	v_mul_f32_dpp v4, v27, v39 row_newbcast:0 row_mask:0xf bank_mask:0xf// 00000000BB7C: 0A084EFA FF01501B
	v_mfma_f32_16x16x32_fp8_fp8 v[8:11], a[112:113], a[40:41], 0// 00000000BB84: D3F30008 1A025170
	v_mfma_f32_16x16x32_fp8_fp8 v[8:11], a[114:115], a[42:43], v[8:11]// 00000000BB8C: D3F30008 1C225572
	v_mfma_f32_16x16x32_fp8_fp8 v[8:11], a[116:117], a[44:45], v[8:11]// 00000000BB94: D3F30008 1C225974
	v_mfma_f32_16x16x32_fp8_fp8 v[8:11], a[118:119], a[46:47], v[8:11]// 00000000BB9C: D3F30008 1C225D76
	v_fma_f32 v240, v12, v6, v240                              // 00000000BBA4: D1CB00F0 07C20D0C
	v_fma_f32 v241, v13, v6, v241                              // 00000000BBAC: D1CB00F1 07C60D0D
	v_fma_f32 v242, v14, v6, v242                              // 00000000BBB4: D1CB00F2 07CA0D0E
	v_fma_f32 v243, v15, v6, v243                              // 00000000BBBC: D1CB00F3 07CE0D0F
	v_mfma_f32_16x16x32_fp8_fp8 v[12:15], a[120:121], a[40:41], 0// 00000000BBC4: D3F3000C 1A025178
	v_mfma_f32_16x16x32_fp8_fp8 v[12:15], a[122:123], a[42:43], v[12:15]// 00000000BBCC: D3F3000C 1C32557A
	v_mfma_f32_16x16x32_fp8_fp8 v[12:15], a[124:125], a[44:45], v[12:15]// 00000000BBD4: D3F3000C 1C32597C
	v_mfma_f32_16x16x32_fp8_fp8 v[12:15], a[126:127], a[46:47], v[12:15]// 00000000BBDC: D3F3000C 1C325D7E
	v_fma_f32 v160, v8, v4, v160                               // 00000000BBE4: D1CB00A0 06820908
	v_fma_f32 v161, v9, v4, v161                               // 00000000BBEC: D1CB00A1 06860909
	v_fma_f32 v162, v10, v4, v162                              // 00000000BBF4: D1CB00A2 068A090A
	v_fma_f32 v163, v11, v4, v163                              // 00000000BBFC: D1CB00A3 068E090B
	v_mul_f32_dpp v6, v27, v39 row_newbcast:1 row_mask:0xf bank_mask:0xf// 00000000BC04: 0A0C4EFA FF01511B
	v_mfma_f32_16x16x32_fp8_fp8 v[8:11], a[128:129], a[40:41], 0// 00000000BC0C: D3F30008 1A025180
	v_mfma_f32_16x16x32_fp8_fp8 v[8:11], a[130:131], a[42:43], v[8:11]// 00000000BC14: D3F30008 1C225582
	v_mfma_f32_16x16x32_fp8_fp8 v[8:11], a[132:133], a[44:45], v[8:11]// 00000000BC1C: D3F30008 1C225984
	v_mfma_f32_16x16x32_fp8_fp8 v[8:11], a[134:135], a[46:47], v[8:11]// 00000000BC24: D3F30008 1C225D86
	v_fma_f32 v172, v12, v4, v172                              // 00000000BC2C: D1CB00AC 06B2090C
	v_fma_f32 v173, v13, v4, v173                              // 00000000BC34: D1CB00AD 06B6090D
	v_fma_f32 v174, v14, v4, v174                              // 00000000BC3C: D1CB00AE 06BA090E
	v_fma_f32 v175, v15, v4, v175                              // 00000000BC44: D1CB00AF 06BE090F
	v_mfma_f32_16x16x32_fp8_fp8 v[12:15], a[136:137], a[40:41], 0// 00000000BC4C: D3F3000C 1A025188
	v_mfma_f32_16x16x32_fp8_fp8 v[12:15], a[138:139], a[42:43], v[12:15]// 00000000BC54: D3F3000C 1C32558A
	v_mfma_f32_16x16x32_fp8_fp8 v[12:15], a[140:141], a[44:45], v[12:15]// 00000000BC5C: D3F3000C 1C32598C
	v_mfma_f32_16x16x32_fp8_fp8 v[12:15], a[142:143], a[46:47], v[12:15]// 00000000BC64: D3F3000C 1C325D8E
	v_fma_f32 v184, v8, v6, v184                               // 00000000BC6C: D1CB00B8 06E20D08
	v_fma_f32 v185, v9, v6, v185                               // 00000000BC74: D1CB00B9 06E60D09
	v_fma_f32 v186, v10, v6, v186                              // 00000000BC7C: D1CB00BA 06EA0D0A
	v_fma_f32 v187, v11, v6, v187                              // 00000000BC84: D1CB00BB 06EE0D0B
	v_mul_f32_dpp v4, v27, v39 row_newbcast:2 row_mask:0xf bank_mask:0xf// 00000000BC8C: 0A084EFA FF01521B
	v_mfma_f32_16x16x32_fp8_fp8 v[8:11], a[144:145], a[40:41], 0// 00000000BC94: D3F30008 1A025190
	v_mfma_f32_16x16x32_fp8_fp8 v[8:11], a[146:147], a[42:43], v[8:11]// 00000000BC9C: D3F30008 1C225592
	v_mfma_f32_16x16x32_fp8_fp8 v[8:11], a[148:149], a[44:45], v[8:11]// 00000000BCA4: D3F30008 1C225994
	v_mfma_f32_16x16x32_fp8_fp8 v[8:11], a[150:151], a[46:47], v[8:11]// 00000000BCAC: D3F30008 1C225D96
	v_fma_f32 v196, v12, v6, v196                              // 00000000BCB4: D1CB00C4 07120D0C
	v_fma_f32 v197, v13, v6, v197                              // 00000000BCBC: D1CB00C5 07160D0D
	v_fma_f32 v198, v14, v6, v198                              // 00000000BCC4: D1CB00C6 071A0D0E
	v_fma_f32 v199, v15, v6, v199                              // 00000000BCCC: D1CB00C7 071E0D0F
	v_mfma_f32_16x16x32_fp8_fp8 v[12:15], a[152:153], a[40:41], 0// 00000000BCD4: D3F3000C 1A025198
	v_mfma_f32_16x16x32_fp8_fp8 v[12:15], a[154:155], a[42:43], v[12:15]// 00000000BCDC: D3F3000C 1C32559A
	v_mfma_f32_16x16x32_fp8_fp8 v[12:15], a[156:157], a[44:45], v[12:15]// 00000000BCE4: D3F3000C 1C32599C
	v_mfma_f32_16x16x32_fp8_fp8 v[12:15], a[158:159], a[46:47], v[12:15]// 00000000BCEC: D3F3000C 1C325D9E
	v_fma_f32 v208, v8, v4, v208                               // 00000000BCF4: D1CB00D0 07420908
	v_fma_f32 v209, v9, v4, v209                               // 00000000BCFC: D1CB00D1 07460909
	v_fma_f32 v210, v10, v4, v210                              // 00000000BD04: D1CB00D2 074A090A
	v_fma_f32 v211, v11, v4, v211                              // 00000000BD0C: D1CB00D3 074E090B
	v_mul_f32_dpp v6, v27, v39 row_newbcast:3 row_mask:0xf bank_mask:0xf// 00000000BD14: 0A0C4EFA FF01531B
	v_mfma_f32_16x16x32_fp8_fp8 v[8:11], a[160:161], a[40:41], 0// 00000000BD1C: D3F30008 1A0251A0
	v_mfma_f32_16x16x32_fp8_fp8 v[8:11], a[162:163], a[42:43], v[8:11]// 00000000BD24: D3F30008 1C2255A2
	v_mfma_f32_16x16x32_fp8_fp8 v[8:11], a[164:165], a[44:45], v[8:11]// 00000000BD2C: D3F30008 1C2259A4
	s_add_u32 s60, 0x180, s80                                  // 00000000BD34: 803C50FF 00000180
	s_cmp_lt_u32 s60, s81                                      // 00000000BD3C: BF0A513C
	s_cselect_b32 s57, s57, 0                                  // 00000000BD40: 85398039
	s_cselect_b32 s3, s3, 0                                    // 00000000BD44: 85038003
	v_mfma_f32_16x16x32_fp8_fp8 v[8:11], a[166:167], a[46:47], v[8:11]// 00000000BD48: D3F30008 1C225DA6
	s_add_u32 s60, 0x100, s80                                  // 00000000BD50: 803C50FF 00000100
	s_cmp_lt_u32 s60, s81                                      // 00000000BD58: BF0A513C
	s_cselect_b32 s58, s58, 0                                  // 00000000BD5C: 853A803A
	v_fma_f32 v220, v12, v4, v220                              // 00000000BD60: D1CB00DC 0772090C
	v_fma_f32 v221, v13, v4, v221                              // 00000000BD68: D1CB00DD 0776090D
	v_fma_f32 v222, v14, v4, v222                              // 00000000BD70: D1CB00DE 077A090E
	v_fma_f32 v223, v15, v4, v223                              // 00000000BD78: D1CB00DF 077E090F
	v_mfma_f32_16x16x32_fp8_fp8 v[12:15], a[168:169], a[40:41], 0// 00000000BD80: D3F3000C 1A0251A8
	s_add_u32 s24, s58, s24                                    // 00000000BD88: 8018183A
	s_addc_u32 s25, 0, s25                                     // 00000000BD8C: 82191980
	v_mfma_f32_16x16x32_fp8_fp8 v[12:15], a[170:171], a[42:43], v[12:15]// 00000000BD90: D3F3000C 1C3255AA
	s_add_u32 s20, s57, s20                                    // 00000000BD98: 80141439
	s_addc_u32 s21, 0, s21                                     // 00000000BD9C: 82151580
	s_add_u32 s28, s3, s28                                     // 00000000BDA0: 801C1C03
	s_addc_u32 s29, 0, s29                                     // 00000000BDA4: 821D1D80
	v_mfma_f32_16x16x32_fp8_fp8 v[12:15], a[172:173], a[44:45], v[12:15]// 00000000BDA8: D3F3000C 1C3259AC
	s_add_u32 s84, s83, s84                                    // 00000000BDB0: 80545453
	s_addc_u32 s85, 0, s85                                     // 00000000BDB4: 82555580
	v_mfma_f32_16x16x32_fp8_fp8 v[12:15], a[174:175], a[46:47], v[12:15]// 00000000BDB8: D3F3000C 1C325DAE
	v_fma_f32 v232, v8, v6, v232                               // 00000000BDC0: D1CB00E8 07A20D08
	v_fma_f32 v233, v9, v6, v233                               // 00000000BDC8: D1CB00E9 07A60D09
	v_fma_f32 v234, v10, v6, v234                              // 00000000BDD0: D1CB00EA 07AA0D0A
	v_fma_f32 v235, v11, v6, v235                              // 00000000BDD8: D1CB00EB 07AE0D0B
	v_fma_f32 v244, v12, v6, v244                              // 00000000BDE0: D1CB00F4 07D20D0C
	v_fma_f32 v245, v13, v6, v245                              // 00000000BDE8: D1CB00F5 07D60D0D
	v_fma_f32 v246, v14, v6, v246                              // 00000000BDF0: D1CB00F6 07DA0D0E
	v_fma_f32 v247, v15, v6, v247                              // 00000000BDF8: D1CB00F7 07DE0D0F
	s_addk_i32 s80, 0x80                                       // 00000000BE00: B7500080
	s_cmp_lt_i32 s80, s81                                      // 00000000BE04: BF045150
	s_cbranch_scc0 label_2507                                  // 00000000BE08: BF840001
	s_branch label_1D4C                                        // 00000000BE0C: BF82F845

000000000000be10 <label_2507>:
	s_cmp_eq_u32 s88, 0                                        // 00000000BE10: BF068058
	s_cbranch_scc0 label_31D8                                  // 00000000BE14: BF840CCF
	s_cmp_eq_u32 s89, 0                                        // 00000000BE18: BF068059
	s_cbranch_scc1 label_28D0                                  // 00000000BE1C: BF8503C5
	v_mov_b32_e32 v8, v1                                       // 00000000BE20: 7E100301
	v_mov_b32_e32 v9, v1                                       // 00000000BE24: 7E120301
	s_mov_b32 s60, s6                                          // 00000000BE28: BEBC0006
	s_mov_b32 s61, s6                                          // 00000000BE2C: BEBD0006
	v_pk_mul_f32 v[4:5], v[56:57], v[56:57]                    // 00000000BE30: D3B14004 18027138
	v_pk_mul_f32 v[6:7], v[58:59], v[58:59]                    // 00000000BE38: D3B14006 1802753A
	v_pk_fma_f32 v[4:5], v[4:5], s[78:79], v[8:9]              // 00000000BE40: D3B04004 1C209D04
	v_pk_fma_f32 v[6:7], v[6:7], s[78:79], v[8:9]              // 00000000BE48: D3B04006 1C209D06
	v_pk_mul_f32 v[4:5], v[4:5], v[56:57]                      // 00000000BE50: D3B14004 18027104
	v_pk_mul_f32 v[6:7], v[6:7], v[58:59]                      // 00000000BE58: D3B14006 18027506
	v_pk_mul_f32 v[4:5], v[4:5], s[60:61]                      // 00000000BE60: D3B14004 18007904
	v_pk_mul_f32 v[6:7], v[6:7], s[60:61]                      // 00000000BE68: D3B14006 18007906
	v_exp_f32_e32 v4, v4                                       // 00000000BE70: 7E084104
	v_exp_f32_e32 v5, v5                                       // 00000000BE74: 7E0A4105
	v_exp_f32_e32 v6, v6                                       // 00000000BE78: 7E0C4106
	v_exp_f32_e32 v7, v7                                       // 00000000BE7C: 7E0E4107
	v_add_f32_e64 v4, v4, 1.0                                  // 00000000BE80: D1010004 0001E504
	v_add_f32_e64 v5, v5, 1.0                                  // 00000000BE88: D1010005 0001E505
	v_add_f32_e64 v6, v6, 1.0                                  // 00000000BE90: D1010006 0001E506
	v_add_f32_e64 v7, v7, 1.0                                  // 00000000BE98: D1010007 0001E507
	v_rcp_f32_e32 v4, v4                                       // 00000000BEA0: 7E084504
	v_rcp_f32_e32 v5, v5                                       // 00000000BEA4: 7E0A4505
	v_rcp_f32_e32 v6, v6                                       // 00000000BEA8: 7E0C4506
	v_rcp_f32_e32 v7, v7                                       // 00000000BEAC: 7E0E4507
	v_mul_f32_e32 v56, v56, v4                                 // 00000000BEB0: 0A700938
	v_mul_f32_e32 v57, v57, v5                                 // 00000000BEB4: 0A720B39
	v_mul_f32_e32 v58, v58, v6                                 // 00000000BEB8: 0A740D3A
	v_mul_f32_e32 v59, v59, v7                                 // 00000000BEBC: 0A760F3B
	v_mul_f32_e32 v56, v56, v152                               // 00000000BEC0: 0A713138
	v_mul_f32_e32 v57, v57, v153                               // 00000000BEC4: 0A733339
	v_mul_f32_e32 v58, v58, v154                               // 00000000BEC8: 0A75353A
	v_mul_f32_e32 v59, v59, v155                               // 00000000BECC: 0A77373B
	v_pk_mul_f32 v[4:5], v[60:61], v[60:61]                    // 00000000BED0: D3B14004 1802793C
	v_pk_mul_f32 v[6:7], v[62:63], v[62:63]                    // 00000000BED8: D3B14006 18027D3E
	v_pk_fma_f32 v[4:5], v[4:5], s[78:79], v[8:9]              // 00000000BEE0: D3B04004 1C209D04
	v_pk_fma_f32 v[6:7], v[6:7], s[78:79], v[8:9]              // 00000000BEE8: D3B04006 1C209D06
	v_pk_mul_f32 v[4:5], v[4:5], v[60:61]                      // 00000000BEF0: D3B14004 18027904
	v_pk_mul_f32 v[6:7], v[6:7], v[62:63]                      // 00000000BEF8: D3B14006 18027D06
	v_pk_mul_f32 v[4:5], v[4:5], s[60:61]                      // 00000000BF00: D3B14004 18007904
	v_pk_mul_f32 v[6:7], v[6:7], s[60:61]                      // 00000000BF08: D3B14006 18007906
	v_exp_f32_e32 v4, v4                                       // 00000000BF10: 7E084104
	v_exp_f32_e32 v5, v5                                       // 00000000BF14: 7E0A4105
	v_exp_f32_e32 v6, v6                                       // 00000000BF18: 7E0C4106
	v_exp_f32_e32 v7, v7                                       // 00000000BF1C: 7E0E4107
	v_add_f32_e64 v4, v4, 1.0                                  // 00000000BF20: D1010004 0001E504
	v_add_f32_e64 v5, v5, 1.0                                  // 00000000BF28: D1010005 0001E505
	v_add_f32_e64 v6, v6, 1.0                                  // 00000000BF30: D1010006 0001E506
	v_add_f32_e64 v7, v7, 1.0                                  // 00000000BF38: D1010007 0001E507
	v_rcp_f32_e32 v4, v4                                       // 00000000BF40: 7E084504
	v_rcp_f32_e32 v5, v5                                       // 00000000BF44: 7E0A4505
	v_rcp_f32_e32 v6, v6                                       // 00000000BF48: 7E0C4506
	v_rcp_f32_e32 v7, v7                                       // 00000000BF4C: 7E0E4507
	v_mul_f32_e32 v60, v60, v4                                 // 00000000BF50: 0A78093C
	v_mul_f32_e32 v61, v61, v5                                 // 00000000BF54: 0A7A0B3D
	v_mul_f32_e32 v62, v62, v6                                 // 00000000BF58: 0A7C0D3E
	v_mul_f32_e32 v63, v63, v7                                 // 00000000BF5C: 0A7E0F3F
	v_mul_f32_e32 v60, v60, v156                               // 00000000BF60: 0A79393C
	v_mul_f32_e32 v61, v61, v157                               // 00000000BF64: 0A7B3B3D
	v_mul_f32_e32 v62, v62, v158                               // 00000000BF68: 0A7D3D3E
	v_mul_f32_e32 v63, v63, v159                               // 00000000BF6C: 0A7F3F3F
	v_pk_mul_f32 v[4:5], v[64:65], v[64:65]                    // 00000000BF70: D3B14004 18028140
	v_pk_mul_f32 v[6:7], v[66:67], v[66:67]                    // 00000000BF78: D3B14006 18028542
	v_pk_fma_f32 v[4:5], v[4:5], s[78:79], v[8:9]              // 00000000BF80: D3B04004 1C209D04
	v_pk_fma_f32 v[6:7], v[6:7], s[78:79], v[8:9]              // 00000000BF88: D3B04006 1C209D06
	v_pk_mul_f32 v[4:5], v[4:5], v[64:65]                      // 00000000BF90: D3B14004 18028104
	v_pk_mul_f32 v[6:7], v[6:7], v[66:67]                      // 00000000BF98: D3B14006 18028506
	v_pk_mul_f32 v[4:5], v[4:5], s[60:61]                      // 00000000BFA0: D3B14004 18007904
	v_pk_mul_f32 v[6:7], v[6:7], s[60:61]                      // 00000000BFA8: D3B14006 18007906
	v_exp_f32_e32 v4, v4                                       // 00000000BFB0: 7E084104
	v_exp_f32_e32 v5, v5                                       // 00000000BFB4: 7E0A4105
	v_exp_f32_e32 v6, v6                                       // 00000000BFB8: 7E0C4106
	v_exp_f32_e32 v7, v7                                       // 00000000BFBC: 7E0E4107
	v_add_f32_e64 v4, v4, 1.0                                  // 00000000BFC0: D1010004 0001E504
	v_add_f32_e64 v5, v5, 1.0                                  // 00000000BFC8: D1010005 0001E505
	v_add_f32_e64 v6, v6, 1.0                                  // 00000000BFD0: D1010006 0001E506
	v_add_f32_e64 v7, v7, 1.0                                  // 00000000BFD8: D1010007 0001E507
	v_rcp_f32_e32 v4, v4                                       // 00000000BFE0: 7E084504
	v_rcp_f32_e32 v5, v5                                       // 00000000BFE4: 7E0A4505
	v_rcp_f32_e32 v6, v6                                       // 00000000BFE8: 7E0C4506
	v_rcp_f32_e32 v7, v7                                       // 00000000BFEC: 7E0E4507
	v_mul_f32_e32 v64, v64, v4                                 // 00000000BFF0: 0A800940
	v_mul_f32_e32 v65, v65, v5                                 // 00000000BFF4: 0A820B41
	v_mul_f32_e32 v66, v66, v6                                 // 00000000BFF8: 0A840D42
	v_mul_f32_e32 v67, v67, v7                                 // 00000000BFFC: 0A860F43
	v_mul_f32_e32 v64, v64, v160                               // 00000000C000: 0A814140
	v_mul_f32_e32 v65, v65, v161                               // 00000000C004: 0A834341
	v_mul_f32_e32 v66, v66, v162                               // 00000000C008: 0A854542
	v_mul_f32_e32 v67, v67, v163                               // 00000000C00C: 0A874743
	v_pk_mul_f32 v[4:5], v[68:69], v[68:69]                    // 00000000C010: D3B14004 18028944
	v_pk_mul_f32 v[6:7], v[70:71], v[70:71]                    // 00000000C018: D3B14006 18028D46
	v_pk_fma_f32 v[4:5], v[4:5], s[78:79], v[8:9]              // 00000000C020: D3B04004 1C209D04
	v_pk_fma_f32 v[6:7], v[6:7], s[78:79], v[8:9]              // 00000000C028: D3B04006 1C209D06
	v_pk_mul_f32 v[4:5], v[4:5], v[68:69]                      // 00000000C030: D3B14004 18028904
	v_pk_mul_f32 v[6:7], v[6:7], v[70:71]                      // 00000000C038: D3B14006 18028D06
	v_pk_mul_f32 v[4:5], v[4:5], s[60:61]                      // 00000000C040: D3B14004 18007904
	v_pk_mul_f32 v[6:7], v[6:7], s[60:61]                      // 00000000C048: D3B14006 18007906
	v_exp_f32_e32 v4, v4                                       // 00000000C050: 7E084104
	v_exp_f32_e32 v5, v5                                       // 00000000C054: 7E0A4105
	v_exp_f32_e32 v6, v6                                       // 00000000C058: 7E0C4106
	v_exp_f32_e32 v7, v7                                       // 00000000C05C: 7E0E4107
	v_add_f32_e64 v4, v4, 1.0                                  // 00000000C060: D1010004 0001E504
	v_add_f32_e64 v5, v5, 1.0                                  // 00000000C068: D1010005 0001E505
	v_add_f32_e64 v6, v6, 1.0                                  // 00000000C070: D1010006 0001E506
	v_add_f32_e64 v7, v7, 1.0                                  // 00000000C078: D1010007 0001E507
	v_rcp_f32_e32 v4, v4                                       // 00000000C080: 7E084504
	v_rcp_f32_e32 v5, v5                                       // 00000000C084: 7E0A4505
	v_rcp_f32_e32 v6, v6                                       // 00000000C088: 7E0C4506
	v_rcp_f32_e32 v7, v7                                       // 00000000C08C: 7E0E4507
	v_mul_f32_e32 v68, v68, v4                                 // 00000000C090: 0A880944
	v_mul_f32_e32 v69, v69, v5                                 // 00000000C094: 0A8A0B45
	v_mul_f32_e32 v70, v70, v6                                 // 00000000C098: 0A8C0D46
	v_mul_f32_e32 v71, v71, v7                                 // 00000000C09C: 0A8E0F47
	v_mul_f32_e32 v68, v68, v164                               // 00000000C0A0: 0A894944
	v_mul_f32_e32 v69, v69, v165                               // 00000000C0A4: 0A8B4B45
	v_mul_f32_e32 v70, v70, v166                               // 00000000C0A8: 0A8D4D46
	v_mul_f32_e32 v71, v71, v167                               // 00000000C0AC: 0A8F4F47
	v_pk_mul_f32 v[4:5], v[72:73], v[72:73]                    // 00000000C0B0: D3B14004 18029148
	v_pk_mul_f32 v[6:7], v[74:75], v[74:75]                    // 00000000C0B8: D3B14006 1802954A
	v_pk_fma_f32 v[4:5], v[4:5], s[78:79], v[8:9]              // 00000000C0C0: D3B04004 1C209D04
	v_pk_fma_f32 v[6:7], v[6:7], s[78:79], v[8:9]              // 00000000C0C8: D3B04006 1C209D06
	v_pk_mul_f32 v[4:5], v[4:5], v[72:73]                      // 00000000C0D0: D3B14004 18029104
	v_pk_mul_f32 v[6:7], v[6:7], v[74:75]                      // 00000000C0D8: D3B14006 18029506
	v_pk_mul_f32 v[4:5], v[4:5], s[60:61]                      // 00000000C0E0: D3B14004 18007904
	v_pk_mul_f32 v[6:7], v[6:7], s[60:61]                      // 00000000C0E8: D3B14006 18007906
	v_exp_f32_e32 v4, v4                                       // 00000000C0F0: 7E084104
	v_exp_f32_e32 v5, v5                                       // 00000000C0F4: 7E0A4105
	v_exp_f32_e32 v6, v6                                       // 00000000C0F8: 7E0C4106
	v_exp_f32_e32 v7, v7                                       // 00000000C0FC: 7E0E4107
	v_add_f32_e64 v4, v4, 1.0                                  // 00000000C100: D1010004 0001E504
	v_add_f32_e64 v5, v5, 1.0                                  // 00000000C108: D1010005 0001E505
	v_add_f32_e64 v6, v6, 1.0                                  // 00000000C110: D1010006 0001E506
	v_add_f32_e64 v7, v7, 1.0                                  // 00000000C118: D1010007 0001E507
	v_rcp_f32_e32 v4, v4                                       // 00000000C120: 7E084504
	v_rcp_f32_e32 v5, v5                                       // 00000000C124: 7E0A4505
	v_rcp_f32_e32 v6, v6                                       // 00000000C128: 7E0C4506
	v_rcp_f32_e32 v7, v7                                       // 00000000C12C: 7E0E4507
	v_mul_f32_e32 v72, v72, v4                                 // 00000000C130: 0A900948
	v_mul_f32_e32 v73, v73, v5                                 // 00000000C134: 0A920B49
	v_mul_f32_e32 v74, v74, v6                                 // 00000000C138: 0A940D4A
	v_mul_f32_e32 v75, v75, v7                                 // 00000000C13C: 0A960F4B
	v_mul_f32_e32 v72, v72, v168                               // 00000000C140: 0A915148
	v_mul_f32_e32 v73, v73, v169                               // 00000000C144: 0A935349
	v_mul_f32_e32 v74, v74, v170                               // 00000000C148: 0A95554A
	v_mul_f32_e32 v75, v75, v171                               // 00000000C14C: 0A97574B
	v_pk_mul_f32 v[4:5], v[76:77], v[76:77]                    // 00000000C150: D3B14004 1802994C
	v_pk_mul_f32 v[6:7], v[78:79], v[78:79]                    // 00000000C158: D3B14006 18029D4E
	v_pk_fma_f32 v[4:5], v[4:5], s[78:79], v[8:9]              // 00000000C160: D3B04004 1C209D04
	v_pk_fma_f32 v[6:7], v[6:7], s[78:79], v[8:9]              // 00000000C168: D3B04006 1C209D06
	v_pk_mul_f32 v[4:5], v[4:5], v[76:77]                      // 00000000C170: D3B14004 18029904
	v_pk_mul_f32 v[6:7], v[6:7], v[78:79]                      // 00000000C178: D3B14006 18029D06
	v_pk_mul_f32 v[4:5], v[4:5], s[60:61]                      // 00000000C180: D3B14004 18007904
	v_pk_mul_f32 v[6:7], v[6:7], s[60:61]                      // 00000000C188: D3B14006 18007906
	v_exp_f32_e32 v4, v4                                       // 00000000C190: 7E084104
	v_exp_f32_e32 v5, v5                                       // 00000000C194: 7E0A4105
	v_exp_f32_e32 v6, v6                                       // 00000000C198: 7E0C4106
	v_exp_f32_e32 v7, v7                                       // 00000000C19C: 7E0E4107
	v_add_f32_e64 v4, v4, 1.0                                  // 00000000C1A0: D1010004 0001E504
	v_add_f32_e64 v5, v5, 1.0                                  // 00000000C1A8: D1010005 0001E505
	v_add_f32_e64 v6, v6, 1.0                                  // 00000000C1B0: D1010006 0001E506
	v_add_f32_e64 v7, v7, 1.0                                  // 00000000C1B8: D1010007 0001E507
	v_rcp_f32_e32 v4, v4                                       // 00000000C1C0: 7E084504
	v_rcp_f32_e32 v5, v5                                       // 00000000C1C4: 7E0A4505
	v_rcp_f32_e32 v6, v6                                       // 00000000C1C8: 7E0C4506
	v_rcp_f32_e32 v7, v7                                       // 00000000C1CC: 7E0E4507
	v_mul_f32_e32 v76, v76, v4                                 // 00000000C1D0: 0A98094C
	v_mul_f32_e32 v77, v77, v5                                 // 00000000C1D4: 0A9A0B4D
	v_mul_f32_e32 v78, v78, v6                                 // 00000000C1D8: 0A9C0D4E
	v_mul_f32_e32 v79, v79, v7                                 // 00000000C1DC: 0A9E0F4F
	v_mul_f32_e32 v76, v76, v172                               // 00000000C1E0: 0A99594C
	v_mul_f32_e32 v77, v77, v173                               // 00000000C1E4: 0A9B5B4D
	v_mul_f32_e32 v78, v78, v174                               // 00000000C1E8: 0A9D5D4E
	v_mul_f32_e32 v79, v79, v175                               // 00000000C1EC: 0A9F5F4F
	v_pk_mul_f32 v[4:5], v[80:81], v[80:81]                    // 00000000C1F0: D3B14004 1802A150
	v_pk_mul_f32 v[6:7], v[82:83], v[82:83]                    // 00000000C1F8: D3B14006 1802A552
	v_pk_fma_f32 v[4:5], v[4:5], s[78:79], v[8:9]              // 00000000C200: D3B04004 1C209D04
	v_pk_fma_f32 v[6:7], v[6:7], s[78:79], v[8:9]              // 00000000C208: D3B04006 1C209D06
	v_pk_mul_f32 v[4:5], v[4:5], v[80:81]                      // 00000000C210: D3B14004 1802A104
	v_pk_mul_f32 v[6:7], v[6:7], v[82:83]                      // 00000000C218: D3B14006 1802A506
	v_pk_mul_f32 v[4:5], v[4:5], s[60:61]                      // 00000000C220: D3B14004 18007904
	v_pk_mul_f32 v[6:7], v[6:7], s[60:61]                      // 00000000C228: D3B14006 18007906
	v_exp_f32_e32 v4, v4                                       // 00000000C230: 7E084104
	v_exp_f32_e32 v5, v5                                       // 00000000C234: 7E0A4105
	v_exp_f32_e32 v6, v6                                       // 00000000C238: 7E0C4106
	v_exp_f32_e32 v7, v7                                       // 00000000C23C: 7E0E4107
	v_add_f32_e64 v4, v4, 1.0                                  // 00000000C240: D1010004 0001E504
	v_add_f32_e64 v5, v5, 1.0                                  // 00000000C248: D1010005 0001E505
	v_add_f32_e64 v6, v6, 1.0                                  // 00000000C250: D1010006 0001E506
	v_add_f32_e64 v7, v7, 1.0                                  // 00000000C258: D1010007 0001E507
	v_rcp_f32_e32 v4, v4                                       // 00000000C260: 7E084504
	v_rcp_f32_e32 v5, v5                                       // 00000000C264: 7E0A4505
	v_rcp_f32_e32 v6, v6                                       // 00000000C268: 7E0C4506
	v_rcp_f32_e32 v7, v7                                       // 00000000C26C: 7E0E4507
	v_mul_f32_e32 v80, v80, v4                                 // 00000000C270: 0AA00950
	v_mul_f32_e32 v81, v81, v5                                 // 00000000C274: 0AA20B51
	v_mul_f32_e32 v82, v82, v6                                 // 00000000C278: 0AA40D52
	v_mul_f32_e32 v83, v83, v7                                 // 00000000C27C: 0AA60F53
	v_mul_f32_e32 v80, v80, v176                               // 00000000C280: 0AA16150
	v_mul_f32_e32 v81, v81, v177                               // 00000000C284: 0AA36351
	v_mul_f32_e32 v82, v82, v178                               // 00000000C288: 0AA56552
	v_mul_f32_e32 v83, v83, v179                               // 00000000C28C: 0AA76753
	v_pk_mul_f32 v[4:5], v[84:85], v[84:85]                    // 00000000C290: D3B14004 1802A954
	v_pk_mul_f32 v[6:7], v[86:87], v[86:87]                    // 00000000C298: D3B14006 1802AD56
	v_pk_fma_f32 v[4:5], v[4:5], s[78:79], v[8:9]              // 00000000C2A0: D3B04004 1C209D04
	v_pk_fma_f32 v[6:7], v[6:7], s[78:79], v[8:9]              // 00000000C2A8: D3B04006 1C209D06
	v_pk_mul_f32 v[4:5], v[4:5], v[84:85]                      // 00000000C2B0: D3B14004 1802A904
	v_pk_mul_f32 v[6:7], v[6:7], v[86:87]                      // 00000000C2B8: D3B14006 1802AD06
	v_pk_mul_f32 v[4:5], v[4:5], s[60:61]                      // 00000000C2C0: D3B14004 18007904
	v_pk_mul_f32 v[6:7], v[6:7], s[60:61]                      // 00000000C2C8: D3B14006 18007906
	v_exp_f32_e32 v4, v4                                       // 00000000C2D0: 7E084104
	v_exp_f32_e32 v5, v5                                       // 00000000C2D4: 7E0A4105
	v_exp_f32_e32 v6, v6                                       // 00000000C2D8: 7E0C4106
	v_exp_f32_e32 v7, v7                                       // 00000000C2DC: 7E0E4107
	v_add_f32_e64 v4, v4, 1.0                                  // 00000000C2E0: D1010004 0001E504
	v_add_f32_e64 v5, v5, 1.0                                  // 00000000C2E8: D1010005 0001E505
	v_add_f32_e64 v6, v6, 1.0                                  // 00000000C2F0: D1010006 0001E506
	v_add_f32_e64 v7, v7, 1.0                                  // 00000000C2F8: D1010007 0001E507
	v_rcp_f32_e32 v4, v4                                       // 00000000C300: 7E084504
	v_rcp_f32_e32 v5, v5                                       // 00000000C304: 7E0A4505
	v_rcp_f32_e32 v6, v6                                       // 00000000C308: 7E0C4506
	v_rcp_f32_e32 v7, v7                                       // 00000000C30C: 7E0E4507
	v_mul_f32_e32 v84, v84, v4                                 // 00000000C310: 0AA80954
	v_mul_f32_e32 v85, v85, v5                                 // 00000000C314: 0AAA0B55
	v_mul_f32_e32 v86, v86, v6                                 // 00000000C318: 0AAC0D56
	v_mul_f32_e32 v87, v87, v7                                 // 00000000C31C: 0AAE0F57
	v_mul_f32_e32 v84, v84, v180                               // 00000000C320: 0AA96954
	v_mul_f32_e32 v85, v85, v181                               // 00000000C324: 0AAB6B55
	v_mul_f32_e32 v86, v86, v182                               // 00000000C328: 0AAD6D56
	v_mul_f32_e32 v87, v87, v183                               // 00000000C32C: 0AAF6F57
	v_pk_mul_f32 v[4:5], v[88:89], v[88:89]                    // 00000000C330: D3B14004 1802B158
	v_pk_mul_f32 v[6:7], v[90:91], v[90:91]                    // 00000000C338: D3B14006 1802B55A
	v_pk_fma_f32 v[4:5], v[4:5], s[78:79], v[8:9]              // 00000000C340: D3B04004 1C209D04
	v_pk_fma_f32 v[6:7], v[6:7], s[78:79], v[8:9]              // 00000000C348: D3B04006 1C209D06
	v_pk_mul_f32 v[4:5], v[4:5], v[88:89]                      // 00000000C350: D3B14004 1802B104
	v_pk_mul_f32 v[6:7], v[6:7], v[90:91]                      // 00000000C358: D3B14006 1802B506
	v_pk_mul_f32 v[4:5], v[4:5], s[60:61]                      // 00000000C360: D3B14004 18007904
	v_pk_mul_f32 v[6:7], v[6:7], s[60:61]                      // 00000000C368: D3B14006 18007906
	v_exp_f32_e32 v4, v4                                       // 00000000C370: 7E084104
	v_exp_f32_e32 v5, v5                                       // 00000000C374: 7E0A4105
	v_exp_f32_e32 v6, v6                                       // 00000000C378: 7E0C4106
	v_exp_f32_e32 v7, v7                                       // 00000000C37C: 7E0E4107
	v_add_f32_e64 v4, v4, 1.0                                  // 00000000C380: D1010004 0001E504
	v_add_f32_e64 v5, v5, 1.0                                  // 00000000C388: D1010005 0001E505
	v_add_f32_e64 v6, v6, 1.0                                  // 00000000C390: D1010006 0001E506
	v_add_f32_e64 v7, v7, 1.0                                  // 00000000C398: D1010007 0001E507
	v_rcp_f32_e32 v4, v4                                       // 00000000C3A0: 7E084504
	v_rcp_f32_e32 v5, v5                                       // 00000000C3A4: 7E0A4505
	v_rcp_f32_e32 v6, v6                                       // 00000000C3A8: 7E0C4506
	v_rcp_f32_e32 v7, v7                                       // 00000000C3AC: 7E0E4507
	v_mul_f32_e32 v88, v88, v4                                 // 00000000C3B0: 0AB00958
	v_mul_f32_e32 v89, v89, v5                                 // 00000000C3B4: 0AB20B59
	v_mul_f32_e32 v90, v90, v6                                 // 00000000C3B8: 0AB40D5A
	v_mul_f32_e32 v91, v91, v7                                 // 00000000C3BC: 0AB60F5B
	v_mul_f32_e32 v88, v88, v184                               // 00000000C3C0: 0AB17158
	v_mul_f32_e32 v89, v89, v185                               // 00000000C3C4: 0AB37359
	v_mul_f32_e32 v90, v90, v186                               // 00000000C3C8: 0AB5755A
	v_mul_f32_e32 v91, v91, v187                               // 00000000C3CC: 0AB7775B
	v_pk_mul_f32 v[4:5], v[92:93], v[92:93]                    // 00000000C3D0: D3B14004 1802B95C
	v_pk_mul_f32 v[6:7], v[94:95], v[94:95]                    // 00000000C3D8: D3B14006 1802BD5E
	v_pk_fma_f32 v[4:5], v[4:5], s[78:79], v[8:9]              // 00000000C3E0: D3B04004 1C209D04
	v_pk_fma_f32 v[6:7], v[6:7], s[78:79], v[8:9]              // 00000000C3E8: D3B04006 1C209D06
	v_pk_mul_f32 v[4:5], v[4:5], v[92:93]                      // 00000000C3F0: D3B14004 1802B904
	v_pk_mul_f32 v[6:7], v[6:7], v[94:95]                      // 00000000C3F8: D3B14006 1802BD06
	v_pk_mul_f32 v[4:5], v[4:5], s[60:61]                      // 00000000C400: D3B14004 18007904
	v_pk_mul_f32 v[6:7], v[6:7], s[60:61]                      // 00000000C408: D3B14006 18007906
	v_exp_f32_e32 v4, v4                                       // 00000000C410: 7E084104
	v_exp_f32_e32 v5, v5                                       // 00000000C414: 7E0A4105
	v_exp_f32_e32 v6, v6                                       // 00000000C418: 7E0C4106
	v_exp_f32_e32 v7, v7                                       // 00000000C41C: 7E0E4107
	v_add_f32_e64 v4, v4, 1.0                                  // 00000000C420: D1010004 0001E504
	v_add_f32_e64 v5, v5, 1.0                                  // 00000000C428: D1010005 0001E505
	v_add_f32_e64 v6, v6, 1.0                                  // 00000000C430: D1010006 0001E506
	v_add_f32_e64 v7, v7, 1.0                                  // 00000000C438: D1010007 0001E507
	v_rcp_f32_e32 v4, v4                                       // 00000000C440: 7E084504
	v_rcp_f32_e32 v5, v5                                       // 00000000C444: 7E0A4505
	v_rcp_f32_e32 v6, v6                                       // 00000000C448: 7E0C4506
	v_rcp_f32_e32 v7, v7                                       // 00000000C44C: 7E0E4507
	v_mul_f32_e32 v92, v92, v4                                 // 00000000C450: 0AB8095C
	v_mul_f32_e32 v93, v93, v5                                 // 00000000C454: 0ABA0B5D
	v_mul_f32_e32 v94, v94, v6                                 // 00000000C458: 0ABC0D5E
	v_mul_f32_e32 v95, v95, v7                                 // 00000000C45C: 0ABE0F5F
	v_mul_f32_e32 v92, v92, v188                               // 00000000C460: 0AB9795C
	v_mul_f32_e32 v93, v93, v189                               // 00000000C464: 0ABB7B5D
	v_mul_f32_e32 v94, v94, v190                               // 00000000C468: 0ABD7D5E
	v_mul_f32_e32 v95, v95, v191                               // 00000000C46C: 0ABF7F5F
	v_pk_mul_f32 v[4:5], v[96:97], v[96:97]                    // 00000000C470: D3B14004 1802C160
	v_pk_mul_f32 v[6:7], v[98:99], v[98:99]                    // 00000000C478: D3B14006 1802C562
	v_pk_fma_f32 v[4:5], v[4:5], s[78:79], v[8:9]              // 00000000C480: D3B04004 1C209D04
	v_pk_fma_f32 v[6:7], v[6:7], s[78:79], v[8:9]              // 00000000C488: D3B04006 1C209D06
	v_pk_mul_f32 v[4:5], v[4:5], v[96:97]                      // 00000000C490: D3B14004 1802C104
	v_pk_mul_f32 v[6:7], v[6:7], v[98:99]                      // 00000000C498: D3B14006 1802C506
	v_pk_mul_f32 v[4:5], v[4:5], s[60:61]                      // 00000000C4A0: D3B14004 18007904
	v_pk_mul_f32 v[6:7], v[6:7], s[60:61]                      // 00000000C4A8: D3B14006 18007906
	v_exp_f32_e32 v4, v4                                       // 00000000C4B0: 7E084104
	v_exp_f32_e32 v5, v5                                       // 00000000C4B4: 7E0A4105
	v_exp_f32_e32 v6, v6                                       // 00000000C4B8: 7E0C4106
	v_exp_f32_e32 v7, v7                                       // 00000000C4BC: 7E0E4107
	v_add_f32_e64 v4, v4, 1.0                                  // 00000000C4C0: D1010004 0001E504
	v_add_f32_e64 v5, v5, 1.0                                  // 00000000C4C8: D1010005 0001E505
	v_add_f32_e64 v6, v6, 1.0                                  // 00000000C4D0: D1010006 0001E506
	v_add_f32_e64 v7, v7, 1.0                                  // 00000000C4D8: D1010007 0001E507
	v_rcp_f32_e32 v4, v4                                       // 00000000C4E0: 7E084504
	v_rcp_f32_e32 v5, v5                                       // 00000000C4E4: 7E0A4505
	v_rcp_f32_e32 v6, v6                                       // 00000000C4E8: 7E0C4506
	v_rcp_f32_e32 v7, v7                                       // 00000000C4EC: 7E0E4507
	v_mul_f32_e32 v96, v96, v4                                 // 00000000C4F0: 0AC00960
	v_mul_f32_e32 v97, v97, v5                                 // 00000000C4F4: 0AC20B61
	v_mul_f32_e32 v98, v98, v6                                 // 00000000C4F8: 0AC40D62
	v_mul_f32_e32 v99, v99, v7                                 // 00000000C4FC: 0AC60F63
	v_mul_f32_e32 v96, v96, v192                               // 00000000C500: 0AC18160
	v_mul_f32_e32 v97, v97, v193                               // 00000000C504: 0AC38361
	v_mul_f32_e32 v98, v98, v194                               // 00000000C508: 0AC58562
	v_mul_f32_e32 v99, v99, v195                               // 00000000C50C: 0AC78763
	v_pk_mul_f32 v[4:5], v[100:101], v[100:101]                // 00000000C510: D3B14004 1802C964
	v_pk_mul_f32 v[6:7], v[102:103], v[102:103]                // 00000000C518: D3B14006 1802CD66
	v_pk_fma_f32 v[4:5], v[4:5], s[78:79], v[8:9]              // 00000000C520: D3B04004 1C209D04
	v_pk_fma_f32 v[6:7], v[6:7], s[78:79], v[8:9]              // 00000000C528: D3B04006 1C209D06
	v_pk_mul_f32 v[4:5], v[4:5], v[100:101]                    // 00000000C530: D3B14004 1802C904
	v_pk_mul_f32 v[6:7], v[6:7], v[102:103]                    // 00000000C538: D3B14006 1802CD06
	v_pk_mul_f32 v[4:5], v[4:5], s[60:61]                      // 00000000C540: D3B14004 18007904
	v_pk_mul_f32 v[6:7], v[6:7], s[60:61]                      // 00000000C548: D3B14006 18007906
	v_exp_f32_e32 v4, v4                                       // 00000000C550: 7E084104
	v_exp_f32_e32 v5, v5                                       // 00000000C554: 7E0A4105
	v_exp_f32_e32 v6, v6                                       // 00000000C558: 7E0C4106
	v_exp_f32_e32 v7, v7                                       // 00000000C55C: 7E0E4107
	v_add_f32_e64 v4, v4, 1.0                                  // 00000000C560: D1010004 0001E504
	v_add_f32_e64 v5, v5, 1.0                                  // 00000000C568: D1010005 0001E505
	v_add_f32_e64 v6, v6, 1.0                                  // 00000000C570: D1010006 0001E506
	v_add_f32_e64 v7, v7, 1.0                                  // 00000000C578: D1010007 0001E507
	v_rcp_f32_e32 v4, v4                                       // 00000000C580: 7E084504
	v_rcp_f32_e32 v5, v5                                       // 00000000C584: 7E0A4505
	v_rcp_f32_e32 v6, v6                                       // 00000000C588: 7E0C4506
	v_rcp_f32_e32 v7, v7                                       // 00000000C58C: 7E0E4507
	v_mul_f32_e32 v100, v100, v4                               // 00000000C590: 0AC80964
	v_mul_f32_e32 v101, v101, v5                               // 00000000C594: 0ACA0B65
	v_mul_f32_e32 v102, v102, v6                               // 00000000C598: 0ACC0D66
	v_mul_f32_e32 v103, v103, v7                               // 00000000C59C: 0ACE0F67
	v_mul_f32_e32 v100, v100, v196                             // 00000000C5A0: 0AC98964
	v_mul_f32_e32 v101, v101, v197                             // 00000000C5A4: 0ACB8B65
	v_mul_f32_e32 v102, v102, v198                             // 00000000C5A8: 0ACD8D66
	v_mul_f32_e32 v103, v103, v199                             // 00000000C5AC: 0ACF8F67
	v_pk_mul_f32 v[4:5], v[104:105], v[104:105]                // 00000000C5B0: D3B14004 1802D168
	v_pk_mul_f32 v[6:7], v[106:107], v[106:107]                // 00000000C5B8: D3B14006 1802D56A
	v_pk_fma_f32 v[4:5], v[4:5], s[78:79], v[8:9]              // 00000000C5C0: D3B04004 1C209D04
	v_pk_fma_f32 v[6:7], v[6:7], s[78:79], v[8:9]              // 00000000C5C8: D3B04006 1C209D06
	v_pk_mul_f32 v[4:5], v[4:5], v[104:105]                    // 00000000C5D0: D3B14004 1802D104
	v_pk_mul_f32 v[6:7], v[6:7], v[106:107]                    // 00000000C5D8: D3B14006 1802D506
	v_pk_mul_f32 v[4:5], v[4:5], s[60:61]                      // 00000000C5E0: D3B14004 18007904
	v_pk_mul_f32 v[6:7], v[6:7], s[60:61]                      // 00000000C5E8: D3B14006 18007906
	v_exp_f32_e32 v4, v4                                       // 00000000C5F0: 7E084104
	v_exp_f32_e32 v5, v5                                       // 00000000C5F4: 7E0A4105
	v_exp_f32_e32 v6, v6                                       // 00000000C5F8: 7E0C4106
	v_exp_f32_e32 v7, v7                                       // 00000000C5FC: 7E0E4107
	v_add_f32_e64 v4, v4, 1.0                                  // 00000000C600: D1010004 0001E504
	v_add_f32_e64 v5, v5, 1.0                                  // 00000000C608: D1010005 0001E505
	v_add_f32_e64 v6, v6, 1.0                                  // 00000000C610: D1010006 0001E506
	v_add_f32_e64 v7, v7, 1.0                                  // 00000000C618: D1010007 0001E507
	v_rcp_f32_e32 v4, v4                                       // 00000000C620: 7E084504
	v_rcp_f32_e32 v5, v5                                       // 00000000C624: 7E0A4505
	v_rcp_f32_e32 v6, v6                                       // 00000000C628: 7E0C4506
	v_rcp_f32_e32 v7, v7                                       // 00000000C62C: 7E0E4507
	v_mul_f32_e32 v104, v104, v4                               // 00000000C630: 0AD00968
	v_mul_f32_e32 v105, v105, v5                               // 00000000C634: 0AD20B69
	v_mul_f32_e32 v106, v106, v6                               // 00000000C638: 0AD40D6A
	v_mul_f32_e32 v107, v107, v7                               // 00000000C63C: 0AD60F6B
	v_mul_f32_e32 v104, v104, v200                             // 00000000C640: 0AD19168
	v_mul_f32_e32 v105, v105, v201                             // 00000000C644: 0AD39369
	v_mul_f32_e32 v106, v106, v202                             // 00000000C648: 0AD5956A
	v_mul_f32_e32 v107, v107, v203                             // 00000000C64C: 0AD7976B
	v_pk_mul_f32 v[4:5], v[108:109], v[108:109]                // 00000000C650: D3B14004 1802D96C
	v_pk_mul_f32 v[6:7], v[110:111], v[110:111]                // 00000000C658: D3B14006 1802DD6E
	v_pk_fma_f32 v[4:5], v[4:5], s[78:79], v[8:9]              // 00000000C660: D3B04004 1C209D04
	v_pk_fma_f32 v[6:7], v[6:7], s[78:79], v[8:9]              // 00000000C668: D3B04006 1C209D06
	v_pk_mul_f32 v[4:5], v[4:5], v[108:109]                    // 00000000C670: D3B14004 1802D904
	v_pk_mul_f32 v[6:7], v[6:7], v[110:111]                    // 00000000C678: D3B14006 1802DD06
	v_pk_mul_f32 v[4:5], v[4:5], s[60:61]                      // 00000000C680: D3B14004 18007904
	v_pk_mul_f32 v[6:7], v[6:7], s[60:61]                      // 00000000C688: D3B14006 18007906
	v_exp_f32_e32 v4, v4                                       // 00000000C690: 7E084104
	v_exp_f32_e32 v5, v5                                       // 00000000C694: 7E0A4105
	v_exp_f32_e32 v6, v6                                       // 00000000C698: 7E0C4106
	v_exp_f32_e32 v7, v7                                       // 00000000C69C: 7E0E4107
	v_add_f32_e64 v4, v4, 1.0                                  // 00000000C6A0: D1010004 0001E504
	v_add_f32_e64 v5, v5, 1.0                                  // 00000000C6A8: D1010005 0001E505
	v_add_f32_e64 v6, v6, 1.0                                  // 00000000C6B0: D1010006 0001E506
	v_add_f32_e64 v7, v7, 1.0                                  // 00000000C6B8: D1010007 0001E507
	v_rcp_f32_e32 v4, v4                                       // 00000000C6C0: 7E084504
	v_rcp_f32_e32 v5, v5                                       // 00000000C6C4: 7E0A4505
	v_rcp_f32_e32 v6, v6                                       // 00000000C6C8: 7E0C4506
	v_rcp_f32_e32 v7, v7                                       // 00000000C6CC: 7E0E4507
	v_mul_f32_e32 v108, v108, v4                               // 00000000C6D0: 0AD8096C
	v_mul_f32_e32 v109, v109, v5                               // 00000000C6D4: 0ADA0B6D
	v_mul_f32_e32 v110, v110, v6                               // 00000000C6D8: 0ADC0D6E
	v_mul_f32_e32 v111, v111, v7                               // 00000000C6DC: 0ADE0F6F
	v_mul_f32_e32 v108, v108, v204                             // 00000000C6E0: 0AD9996C
	v_mul_f32_e32 v109, v109, v205                             // 00000000C6E4: 0ADB9B6D
	v_mul_f32_e32 v110, v110, v206                             // 00000000C6E8: 0ADD9D6E
	v_mul_f32_e32 v111, v111, v207                             // 00000000C6EC: 0ADF9F6F
	v_pk_mul_f32 v[4:5], v[112:113], v[112:113]                // 00000000C6F0: D3B14004 1802E170
	v_pk_mul_f32 v[6:7], v[114:115], v[114:115]                // 00000000C6F8: D3B14006 1802E572
	v_pk_fma_f32 v[4:5], v[4:5], s[78:79], v[8:9]              // 00000000C700: D3B04004 1C209D04
	v_pk_fma_f32 v[6:7], v[6:7], s[78:79], v[8:9]              // 00000000C708: D3B04006 1C209D06
	v_pk_mul_f32 v[4:5], v[4:5], v[112:113]                    // 00000000C710: D3B14004 1802E104
	v_pk_mul_f32 v[6:7], v[6:7], v[114:115]                    // 00000000C718: D3B14006 1802E506
	v_pk_mul_f32 v[4:5], v[4:5], s[60:61]                      // 00000000C720: D3B14004 18007904
	v_pk_mul_f32 v[6:7], v[6:7], s[60:61]                      // 00000000C728: D3B14006 18007906
	v_exp_f32_e32 v4, v4                                       // 00000000C730: 7E084104
	v_exp_f32_e32 v5, v5                                       // 00000000C734: 7E0A4105
	v_exp_f32_e32 v6, v6                                       // 00000000C738: 7E0C4106
	v_exp_f32_e32 v7, v7                                       // 00000000C73C: 7E0E4107
	v_add_f32_e64 v4, v4, 1.0                                  // 00000000C740: D1010004 0001E504
	v_add_f32_e64 v5, v5, 1.0                                  // 00000000C748: D1010005 0001E505
	v_add_f32_e64 v6, v6, 1.0                                  // 00000000C750: D1010006 0001E506
	v_add_f32_e64 v7, v7, 1.0                                  // 00000000C758: D1010007 0001E507
	v_rcp_f32_e32 v4, v4                                       // 00000000C760: 7E084504
	v_rcp_f32_e32 v5, v5                                       // 00000000C764: 7E0A4505
	v_rcp_f32_e32 v6, v6                                       // 00000000C768: 7E0C4506
	v_rcp_f32_e32 v7, v7                                       // 00000000C76C: 7E0E4507
	v_mul_f32_e32 v112, v112, v4                               // 00000000C770: 0AE00970
	v_mul_f32_e32 v113, v113, v5                               // 00000000C774: 0AE20B71
	v_mul_f32_e32 v114, v114, v6                               // 00000000C778: 0AE40D72
	v_mul_f32_e32 v115, v115, v7                               // 00000000C77C: 0AE60F73
	v_mul_f32_e32 v112, v112, v208                             // 00000000C780: 0AE1A170
	v_mul_f32_e32 v113, v113, v209                             // 00000000C784: 0AE3A371
	v_mul_f32_e32 v114, v114, v210                             // 00000000C788: 0AE5A572
	v_mul_f32_e32 v115, v115, v211                             // 00000000C78C: 0AE7A773
	v_pk_mul_f32 v[4:5], v[116:117], v[116:117]                // 00000000C790: D3B14004 1802E974
	v_pk_mul_f32 v[6:7], v[118:119], v[118:119]                // 00000000C798: D3B14006 1802ED76
	v_pk_fma_f32 v[4:5], v[4:5], s[78:79], v[8:9]              // 00000000C7A0: D3B04004 1C209D04
	v_pk_fma_f32 v[6:7], v[6:7], s[78:79], v[8:9]              // 00000000C7A8: D3B04006 1C209D06
	v_pk_mul_f32 v[4:5], v[4:5], v[116:117]                    // 00000000C7B0: D3B14004 1802E904
	v_pk_mul_f32 v[6:7], v[6:7], v[118:119]                    // 00000000C7B8: D3B14006 1802ED06
	v_pk_mul_f32 v[4:5], v[4:5], s[60:61]                      // 00000000C7C0: D3B14004 18007904
	v_pk_mul_f32 v[6:7], v[6:7], s[60:61]                      // 00000000C7C8: D3B14006 18007906
	v_exp_f32_e32 v4, v4                                       // 00000000C7D0: 7E084104
	v_exp_f32_e32 v5, v5                                       // 00000000C7D4: 7E0A4105
	v_exp_f32_e32 v6, v6                                       // 00000000C7D8: 7E0C4106
	v_exp_f32_e32 v7, v7                                       // 00000000C7DC: 7E0E4107
	v_add_f32_e64 v4, v4, 1.0                                  // 00000000C7E0: D1010004 0001E504
	v_add_f32_e64 v5, v5, 1.0                                  // 00000000C7E8: D1010005 0001E505
	v_add_f32_e64 v6, v6, 1.0                                  // 00000000C7F0: D1010006 0001E506
	v_add_f32_e64 v7, v7, 1.0                                  // 00000000C7F8: D1010007 0001E507
	v_rcp_f32_e32 v4, v4                                       // 00000000C800: 7E084504
	v_rcp_f32_e32 v5, v5                                       // 00000000C804: 7E0A4505
	v_rcp_f32_e32 v6, v6                                       // 00000000C808: 7E0C4506
	v_rcp_f32_e32 v7, v7                                       // 00000000C80C: 7E0E4507
	v_mul_f32_e32 v116, v116, v4                               // 00000000C810: 0AE80974
	v_mul_f32_e32 v117, v117, v5                               // 00000000C814: 0AEA0B75
	v_mul_f32_e32 v118, v118, v6                               // 00000000C818: 0AEC0D76
	v_mul_f32_e32 v119, v119, v7                               // 00000000C81C: 0AEE0F77
	v_mul_f32_e32 v116, v116, v212                             // 00000000C820: 0AE9A974
	v_mul_f32_e32 v117, v117, v213                             // 00000000C824: 0AEBAB75
	v_mul_f32_e32 v118, v118, v214                             // 00000000C828: 0AEDAD76
	v_mul_f32_e32 v119, v119, v215                             // 00000000C82C: 0AEFAF77
	v_pk_mul_f32 v[4:5], v[120:121], v[120:121]                // 00000000C830: D3B14004 1802F178
	v_pk_mul_f32 v[6:7], v[122:123], v[122:123]                // 00000000C838: D3B14006 1802F57A
	v_pk_fma_f32 v[4:5], v[4:5], s[78:79], v[8:9]              // 00000000C840: D3B04004 1C209D04
	v_pk_fma_f32 v[6:7], v[6:7], s[78:79], v[8:9]              // 00000000C848: D3B04006 1C209D06
	v_pk_mul_f32 v[4:5], v[4:5], v[120:121]                    // 00000000C850: D3B14004 1802F104
	v_pk_mul_f32 v[6:7], v[6:7], v[122:123]                    // 00000000C858: D3B14006 1802F506
	v_pk_mul_f32 v[4:5], v[4:5], s[60:61]                      // 00000000C860: D3B14004 18007904
	v_pk_mul_f32 v[6:7], v[6:7], s[60:61]                      // 00000000C868: D3B14006 18007906
	v_exp_f32_e32 v4, v4                                       // 00000000C870: 7E084104
	v_exp_f32_e32 v5, v5                                       // 00000000C874: 7E0A4105
	v_exp_f32_e32 v6, v6                                       // 00000000C878: 7E0C4106
	v_exp_f32_e32 v7, v7                                       // 00000000C87C: 7E0E4107
	v_add_f32_e64 v4, v4, 1.0                                  // 00000000C880: D1010004 0001E504
	v_add_f32_e64 v5, v5, 1.0                                  // 00000000C888: D1010005 0001E505
	v_add_f32_e64 v6, v6, 1.0                                  // 00000000C890: D1010006 0001E506
	v_add_f32_e64 v7, v7, 1.0                                  // 00000000C898: D1010007 0001E507
	v_rcp_f32_e32 v4, v4                                       // 00000000C8A0: 7E084504
	v_rcp_f32_e32 v5, v5                                       // 00000000C8A4: 7E0A4505
	v_rcp_f32_e32 v6, v6                                       // 00000000C8A8: 7E0C4506
	v_rcp_f32_e32 v7, v7                                       // 00000000C8AC: 7E0E4507
	v_mul_f32_e32 v120, v120, v4                               // 00000000C8B0: 0AF00978
	v_mul_f32_e32 v121, v121, v5                               // 00000000C8B4: 0AF20B79
	v_mul_f32_e32 v122, v122, v6                               // 00000000C8B8: 0AF40D7A
	v_mul_f32_e32 v123, v123, v7                               // 00000000C8BC: 0AF60F7B
	v_mul_f32_e32 v120, v120, v216                             // 00000000C8C0: 0AF1B178
	v_mul_f32_e32 v121, v121, v217                             // 00000000C8C4: 0AF3B379
	v_mul_f32_e32 v122, v122, v218                             // 00000000C8C8: 0AF5B57A
	v_mul_f32_e32 v123, v123, v219                             // 00000000C8CC: 0AF7B77B
	v_pk_mul_f32 v[4:5], v[124:125], v[124:125]                // 00000000C8D0: D3B14004 1802F97C
	v_pk_mul_f32 v[6:7], v[126:127], v[126:127]                // 00000000C8D8: D3B14006 1802FD7E
	v_pk_fma_f32 v[4:5], v[4:5], s[78:79], v[8:9]              // 00000000C8E0: D3B04004 1C209D04
	v_pk_fma_f32 v[6:7], v[6:7], s[78:79], v[8:9]              // 00000000C8E8: D3B04006 1C209D06
	v_pk_mul_f32 v[4:5], v[4:5], v[124:125]                    // 00000000C8F0: D3B14004 1802F904
	v_pk_mul_f32 v[6:7], v[6:7], v[126:127]                    // 00000000C8F8: D3B14006 1802FD06
	v_pk_mul_f32 v[4:5], v[4:5], s[60:61]                      // 00000000C900: D3B14004 18007904
	v_pk_mul_f32 v[6:7], v[6:7], s[60:61]                      // 00000000C908: D3B14006 18007906
	v_exp_f32_e32 v4, v4                                       // 00000000C910: 7E084104
	v_exp_f32_e32 v5, v5                                       // 00000000C914: 7E0A4105
	v_exp_f32_e32 v6, v6                                       // 00000000C918: 7E0C4106
	v_exp_f32_e32 v7, v7                                       // 00000000C91C: 7E0E4107
	v_add_f32_e64 v4, v4, 1.0                                  // 00000000C920: D1010004 0001E504
	v_add_f32_e64 v5, v5, 1.0                                  // 00000000C928: D1010005 0001E505
	v_add_f32_e64 v6, v6, 1.0                                  // 00000000C930: D1010006 0001E506
	v_add_f32_e64 v7, v7, 1.0                                  // 00000000C938: D1010007 0001E507
	v_rcp_f32_e32 v4, v4                                       // 00000000C940: 7E084504
	v_rcp_f32_e32 v5, v5                                       // 00000000C944: 7E0A4505
	v_rcp_f32_e32 v6, v6                                       // 00000000C948: 7E0C4506
	v_rcp_f32_e32 v7, v7                                       // 00000000C94C: 7E0E4507
	v_mul_f32_e32 v124, v124, v4                               // 00000000C950: 0AF8097C
	v_mul_f32_e32 v125, v125, v5                               // 00000000C954: 0AFA0B7D
	v_mul_f32_e32 v126, v126, v6                               // 00000000C958: 0AFC0D7E
	v_mul_f32_e32 v127, v127, v7                               // 00000000C95C: 0AFE0F7F
	v_mul_f32_e32 v124, v124, v220                             // 00000000C960: 0AF9B97C
	v_mul_f32_e32 v125, v125, v221                             // 00000000C964: 0AFBBB7D
	v_mul_f32_e32 v126, v126, v222                             // 00000000C968: 0AFDBD7E
	v_mul_f32_e32 v127, v127, v223                             // 00000000C96C: 0AFFBF7F
	v_pk_mul_f32 v[4:5], v[128:129], v[128:129]                // 00000000C970: D3B14004 18030180
	v_pk_mul_f32 v[6:7], v[130:131], v[130:131]                // 00000000C978: D3B14006 18030582
	v_pk_fma_f32 v[4:5], v[4:5], s[78:79], v[8:9]              // 00000000C980: D3B04004 1C209D04
	v_pk_fma_f32 v[6:7], v[6:7], s[78:79], v[8:9]              // 00000000C988: D3B04006 1C209D06
	v_pk_mul_f32 v[4:5], v[4:5], v[128:129]                    // 00000000C990: D3B14004 18030104
	v_pk_mul_f32 v[6:7], v[6:7], v[130:131]                    // 00000000C998: D3B14006 18030506
	v_pk_mul_f32 v[4:5], v[4:5], s[60:61]                      // 00000000C9A0: D3B14004 18007904
	v_pk_mul_f32 v[6:7], v[6:7], s[60:61]                      // 00000000C9A8: D3B14006 18007906
	v_exp_f32_e32 v4, v4                                       // 00000000C9B0: 7E084104
	v_exp_f32_e32 v5, v5                                       // 00000000C9B4: 7E0A4105
	v_exp_f32_e32 v6, v6                                       // 00000000C9B8: 7E0C4106
	v_exp_f32_e32 v7, v7                                       // 00000000C9BC: 7E0E4107
	v_add_f32_e64 v4, v4, 1.0                                  // 00000000C9C0: D1010004 0001E504
	v_add_f32_e64 v5, v5, 1.0                                  // 00000000C9C8: D1010005 0001E505
	v_add_f32_e64 v6, v6, 1.0                                  // 00000000C9D0: D1010006 0001E506
	v_add_f32_e64 v7, v7, 1.0                                  // 00000000C9D8: D1010007 0001E507
	v_rcp_f32_e32 v4, v4                                       // 00000000C9E0: 7E084504
	v_rcp_f32_e32 v5, v5                                       // 00000000C9E4: 7E0A4505
	v_rcp_f32_e32 v6, v6                                       // 00000000C9E8: 7E0C4506
	v_rcp_f32_e32 v7, v7                                       // 00000000C9EC: 7E0E4507
	v_mul_f32_e32 v128, v128, v4                               // 00000000C9F0: 0B000980
	v_mul_f32_e32 v129, v129, v5                               // 00000000C9F4: 0B020B81
	v_mul_f32_e32 v130, v130, v6                               // 00000000C9F8: 0B040D82
	v_mul_f32_e32 v131, v131, v7                               // 00000000C9FC: 0B060F83
	v_mul_f32_e32 v128, v128, v224                             // 00000000CA00: 0B01C180
	v_mul_f32_e32 v129, v129, v225                             // 00000000CA04: 0B03C381
	v_mul_f32_e32 v130, v130, v226                             // 00000000CA08: 0B05C582
	v_mul_f32_e32 v131, v131, v227                             // 00000000CA0C: 0B07C783
	v_pk_mul_f32 v[4:5], v[132:133], v[132:133]                // 00000000CA10: D3B14004 18030984
	v_pk_mul_f32 v[6:7], v[134:135], v[134:135]                // 00000000CA18: D3B14006 18030D86
	v_pk_fma_f32 v[4:5], v[4:5], s[78:79], v[8:9]              // 00000000CA20: D3B04004 1C209D04
	v_pk_fma_f32 v[6:7], v[6:7], s[78:79], v[8:9]              // 00000000CA28: D3B04006 1C209D06
	v_pk_mul_f32 v[4:5], v[4:5], v[132:133]                    // 00000000CA30: D3B14004 18030904
	v_pk_mul_f32 v[6:7], v[6:7], v[134:135]                    // 00000000CA38: D3B14006 18030D06
	v_pk_mul_f32 v[4:5], v[4:5], s[60:61]                      // 00000000CA40: D3B14004 18007904
	v_pk_mul_f32 v[6:7], v[6:7], s[60:61]                      // 00000000CA48: D3B14006 18007906
	v_exp_f32_e32 v4, v4                                       // 00000000CA50: 7E084104
	v_exp_f32_e32 v5, v5                                       // 00000000CA54: 7E0A4105
	v_exp_f32_e32 v6, v6                                       // 00000000CA58: 7E0C4106
	v_exp_f32_e32 v7, v7                                       // 00000000CA5C: 7E0E4107
	v_add_f32_e64 v4, v4, 1.0                                  // 00000000CA60: D1010004 0001E504
	v_add_f32_e64 v5, v5, 1.0                                  // 00000000CA68: D1010005 0001E505
	v_add_f32_e64 v6, v6, 1.0                                  // 00000000CA70: D1010006 0001E506
	v_add_f32_e64 v7, v7, 1.0                                  // 00000000CA78: D1010007 0001E507
	v_rcp_f32_e32 v4, v4                                       // 00000000CA80: 7E084504
	v_rcp_f32_e32 v5, v5                                       // 00000000CA84: 7E0A4505
	v_rcp_f32_e32 v6, v6                                       // 00000000CA88: 7E0C4506
	v_rcp_f32_e32 v7, v7                                       // 00000000CA8C: 7E0E4507
	v_mul_f32_e32 v132, v132, v4                               // 00000000CA90: 0B080984
	v_mul_f32_e32 v133, v133, v5                               // 00000000CA94: 0B0A0B85
	v_mul_f32_e32 v134, v134, v6                               // 00000000CA98: 0B0C0D86
	v_mul_f32_e32 v135, v135, v7                               // 00000000CA9C: 0B0E0F87
	v_mul_f32_e32 v132, v132, v228                             // 00000000CAA0: 0B09C984
	v_mul_f32_e32 v133, v133, v229                             // 00000000CAA4: 0B0BCB85
	v_mul_f32_e32 v134, v134, v230                             // 00000000CAA8: 0B0DCD86
	v_mul_f32_e32 v135, v135, v231                             // 00000000CAAC: 0B0FCF87
	v_pk_mul_f32 v[4:5], v[136:137], v[136:137]                // 00000000CAB0: D3B14004 18031188
	v_pk_mul_f32 v[6:7], v[138:139], v[138:139]                // 00000000CAB8: D3B14006 1803158A
	v_pk_fma_f32 v[4:5], v[4:5], s[78:79], v[8:9]              // 00000000CAC0: D3B04004 1C209D04
	v_pk_fma_f32 v[6:7], v[6:7], s[78:79], v[8:9]              // 00000000CAC8: D3B04006 1C209D06
	v_pk_mul_f32 v[4:5], v[4:5], v[136:137]                    // 00000000CAD0: D3B14004 18031104
	v_pk_mul_f32 v[6:7], v[6:7], v[138:139]                    // 00000000CAD8: D3B14006 18031506
	v_pk_mul_f32 v[4:5], v[4:5], s[60:61]                      // 00000000CAE0: D3B14004 18007904
	v_pk_mul_f32 v[6:7], v[6:7], s[60:61]                      // 00000000CAE8: D3B14006 18007906
	v_exp_f32_e32 v4, v4                                       // 00000000CAF0: 7E084104
	v_exp_f32_e32 v5, v5                                       // 00000000CAF4: 7E0A4105
	v_exp_f32_e32 v6, v6                                       // 00000000CAF8: 7E0C4106
	v_exp_f32_e32 v7, v7                                       // 00000000CAFC: 7E0E4107
	v_add_f32_e64 v4, v4, 1.0                                  // 00000000CB00: D1010004 0001E504
	v_add_f32_e64 v5, v5, 1.0                                  // 00000000CB08: D1010005 0001E505
	v_add_f32_e64 v6, v6, 1.0                                  // 00000000CB10: D1010006 0001E506
	v_add_f32_e64 v7, v7, 1.0                                  // 00000000CB18: D1010007 0001E507
	v_rcp_f32_e32 v4, v4                                       // 00000000CB20: 7E084504
	v_rcp_f32_e32 v5, v5                                       // 00000000CB24: 7E0A4505
	v_rcp_f32_e32 v6, v6                                       // 00000000CB28: 7E0C4506
	v_rcp_f32_e32 v7, v7                                       // 00000000CB2C: 7E0E4507
	v_mul_f32_e32 v136, v136, v4                               // 00000000CB30: 0B100988
	v_mul_f32_e32 v137, v137, v5                               // 00000000CB34: 0B120B89
	v_mul_f32_e32 v138, v138, v6                               // 00000000CB38: 0B140D8A
	v_mul_f32_e32 v139, v139, v7                               // 00000000CB3C: 0B160F8B
	v_mul_f32_e32 v136, v136, v232                             // 00000000CB40: 0B11D188
	v_mul_f32_e32 v137, v137, v233                             // 00000000CB44: 0B13D389
	v_mul_f32_e32 v138, v138, v234                             // 00000000CB48: 0B15D58A
	v_mul_f32_e32 v139, v139, v235                             // 00000000CB4C: 0B17D78B
	v_pk_mul_f32 v[4:5], v[140:141], v[140:141]                // 00000000CB50: D3B14004 1803198C
	v_pk_mul_f32 v[6:7], v[142:143], v[142:143]                // 00000000CB58: D3B14006 18031D8E
	v_pk_fma_f32 v[4:5], v[4:5], s[78:79], v[8:9]              // 00000000CB60: D3B04004 1C209D04
	v_pk_fma_f32 v[6:7], v[6:7], s[78:79], v[8:9]              // 00000000CB68: D3B04006 1C209D06
	v_pk_mul_f32 v[4:5], v[4:5], v[140:141]                    // 00000000CB70: D3B14004 18031904
	v_pk_mul_f32 v[6:7], v[6:7], v[142:143]                    // 00000000CB78: D3B14006 18031D06
	v_pk_mul_f32 v[4:5], v[4:5], s[60:61]                      // 00000000CB80: D3B14004 18007904
	v_pk_mul_f32 v[6:7], v[6:7], s[60:61]                      // 00000000CB88: D3B14006 18007906
	v_exp_f32_e32 v4, v4                                       // 00000000CB90: 7E084104
	v_exp_f32_e32 v5, v5                                       // 00000000CB94: 7E0A4105
	v_exp_f32_e32 v6, v6                                       // 00000000CB98: 7E0C4106
	v_exp_f32_e32 v7, v7                                       // 00000000CB9C: 7E0E4107
	v_add_f32_e64 v4, v4, 1.0                                  // 00000000CBA0: D1010004 0001E504
	v_add_f32_e64 v5, v5, 1.0                                  // 00000000CBA8: D1010005 0001E505
	v_add_f32_e64 v6, v6, 1.0                                  // 00000000CBB0: D1010006 0001E506
	v_add_f32_e64 v7, v7, 1.0                                  // 00000000CBB8: D1010007 0001E507
	v_rcp_f32_e32 v4, v4                                       // 00000000CBC0: 7E084504
	v_rcp_f32_e32 v5, v5                                       // 00000000CBC4: 7E0A4505
	v_rcp_f32_e32 v6, v6                                       // 00000000CBC8: 7E0C4506
	v_rcp_f32_e32 v7, v7                                       // 00000000CBCC: 7E0E4507
	v_mul_f32_e32 v140, v140, v4                               // 00000000CBD0: 0B18098C
	v_mul_f32_e32 v141, v141, v5                               // 00000000CBD4: 0B1A0B8D
	v_mul_f32_e32 v142, v142, v6                               // 00000000CBD8: 0B1C0D8E
	v_mul_f32_e32 v143, v143, v7                               // 00000000CBDC: 0B1E0F8F
	v_mul_f32_e32 v140, v140, v236                             // 00000000CBE0: 0B19D98C
	v_mul_f32_e32 v141, v141, v237                             // 00000000CBE4: 0B1BDB8D
	v_mul_f32_e32 v142, v142, v238                             // 00000000CBE8: 0B1DDD8E
	v_mul_f32_e32 v143, v143, v239                             // 00000000CBEC: 0B1FDF8F
	v_pk_mul_f32 v[4:5], v[144:145], v[144:145]                // 00000000CBF0: D3B14004 18032190
	v_pk_mul_f32 v[6:7], v[146:147], v[146:147]                // 00000000CBF8: D3B14006 18032592
	v_pk_fma_f32 v[4:5], v[4:5], s[78:79], v[8:9]              // 00000000CC00: D3B04004 1C209D04
	v_pk_fma_f32 v[6:7], v[6:7], s[78:79], v[8:9]              // 00000000CC08: D3B04006 1C209D06
	v_pk_mul_f32 v[4:5], v[4:5], v[144:145]                    // 00000000CC10: D3B14004 18032104
	v_pk_mul_f32 v[6:7], v[6:7], v[146:147]                    // 00000000CC18: D3B14006 18032506
	v_pk_mul_f32 v[4:5], v[4:5], s[60:61]                      // 00000000CC20: D3B14004 18007904
	v_pk_mul_f32 v[6:7], v[6:7], s[60:61]                      // 00000000CC28: D3B14006 18007906
	v_exp_f32_e32 v4, v4                                       // 00000000CC30: 7E084104
	v_exp_f32_e32 v5, v5                                       // 00000000CC34: 7E0A4105
	v_exp_f32_e32 v6, v6                                       // 00000000CC38: 7E0C4106
	v_exp_f32_e32 v7, v7                                       // 00000000CC3C: 7E0E4107
	v_add_f32_e64 v4, v4, 1.0                                  // 00000000CC40: D1010004 0001E504
	v_add_f32_e64 v5, v5, 1.0                                  // 00000000CC48: D1010005 0001E505
	v_add_f32_e64 v6, v6, 1.0                                  // 00000000CC50: D1010006 0001E506
	v_add_f32_e64 v7, v7, 1.0                                  // 00000000CC58: D1010007 0001E507
	v_rcp_f32_e32 v4, v4                                       // 00000000CC60: 7E084504
	v_rcp_f32_e32 v5, v5                                       // 00000000CC64: 7E0A4505
	v_rcp_f32_e32 v6, v6                                       // 00000000CC68: 7E0C4506
	v_rcp_f32_e32 v7, v7                                       // 00000000CC6C: 7E0E4507
	v_mul_f32_e32 v144, v144, v4                               // 00000000CC70: 0B200990
	v_mul_f32_e32 v145, v145, v5                               // 00000000CC74: 0B220B91
	v_mul_f32_e32 v146, v146, v6                               // 00000000CC78: 0B240D92
	v_mul_f32_e32 v147, v147, v7                               // 00000000CC7C: 0B260F93
	v_mul_f32_e32 v144, v144, v240                             // 00000000CC80: 0B21E190
	v_mul_f32_e32 v145, v145, v241                             // 00000000CC84: 0B23E391
	v_mul_f32_e32 v146, v146, v242                             // 00000000CC88: 0B25E592
	v_mul_f32_e32 v147, v147, v243                             // 00000000CC8C: 0B27E793
	v_pk_mul_f32 v[4:5], v[148:149], v[148:149]                // 00000000CC90: D3B14004 18032994
	v_pk_mul_f32 v[6:7], v[150:151], v[150:151]                // 00000000CC98: D3B14006 18032D96
	v_pk_fma_f32 v[4:5], v[4:5], s[78:79], v[8:9]              // 00000000CCA0: D3B04004 1C209D04
	v_pk_fma_f32 v[6:7], v[6:7], s[78:79], v[8:9]              // 00000000CCA8: D3B04006 1C209D06
	v_pk_mul_f32 v[4:5], v[4:5], v[148:149]                    // 00000000CCB0: D3B14004 18032904
	v_pk_mul_f32 v[6:7], v[6:7], v[150:151]                    // 00000000CCB8: D3B14006 18032D06
	v_pk_mul_f32 v[4:5], v[4:5], s[60:61]                      // 00000000CCC0: D3B14004 18007904
	v_pk_mul_f32 v[6:7], v[6:7], s[60:61]                      // 00000000CCC8: D3B14006 18007906
	v_exp_f32_e32 v4, v4                                       // 00000000CCD0: 7E084104
	v_exp_f32_e32 v5, v5                                       // 00000000CCD4: 7E0A4105
	v_exp_f32_e32 v6, v6                                       // 00000000CCD8: 7E0C4106
	v_exp_f32_e32 v7, v7                                       // 00000000CCDC: 7E0E4107
	v_add_f32_e64 v4, v4, 1.0                                  // 00000000CCE0: D1010004 0001E504
	v_add_f32_e64 v5, v5, 1.0                                  // 00000000CCE8: D1010005 0001E505
	v_add_f32_e64 v6, v6, 1.0                                  // 00000000CCF0: D1010006 0001E506
	v_add_f32_e64 v7, v7, 1.0                                  // 00000000CCF8: D1010007 0001E507
	v_rcp_f32_e32 v4, v4                                       // 00000000CD00: 7E084504
	v_rcp_f32_e32 v5, v5                                       // 00000000CD04: 7E0A4505
	v_rcp_f32_e32 v6, v6                                       // 00000000CD08: 7E0C4506
	v_rcp_f32_e32 v7, v7                                       // 00000000CD0C: 7E0E4507
	v_mul_f32_e32 v148, v148, v4                               // 00000000CD10: 0B280994
	v_mul_f32_e32 v149, v149, v5                               // 00000000CD14: 0B2A0B95
	v_mul_f32_e32 v150, v150, v6                               // 00000000CD18: 0B2C0D96
	v_mul_f32_e32 v151, v151, v7                               // 00000000CD1C: 0B2E0F97
	v_mul_f32_e32 v148, v148, v244                             // 00000000CD20: 0B29E994
	v_mul_f32_e32 v149, v149, v245                             // 00000000CD24: 0B2BEB95
	v_mul_f32_e32 v150, v150, v246                             // 00000000CD28: 0B2DED96
	v_mul_f32_e32 v151, v151, v247                             // 00000000CD2C: 0B2FEF97
	s_branch label_2BD0                                        // 00000000CD30: BF820300

000000000000cd34 <label_28D0>:
	v_mul_f32_e64 v4, -v56, s6                                 // 00000000CD34: D1050004 20000D38
	v_mul_f32_e64 v5, -v57, s6                                 // 00000000CD3C: D1050005 20000D39
	v_mul_f32_e64 v6, -v58, s6                                 // 00000000CD44: D1050006 20000D3A
	v_mul_f32_e64 v7, -v59, s6                                 // 00000000CD4C: D1050007 20000D3B
	v_exp_f32_e32 v4, v4                                       // 00000000CD54: 7E084104
	v_exp_f32_e32 v5, v5                                       // 00000000CD58: 7E0A4105
	v_exp_f32_e32 v6, v6                                       // 00000000CD5C: 7E0C4106
	v_exp_f32_e32 v7, v7                                       // 00000000CD60: 7E0E4107
	v_add_f32_e64 v4, v4, 1.0                                  // 00000000CD64: D1010004 0001E504
	v_add_f32_e64 v5, v5, 1.0                                  // 00000000CD6C: D1010005 0001E505
	v_add_f32_e64 v6, v6, 1.0                                  // 00000000CD74: D1010006 0001E506
	v_add_f32_e64 v7, v7, 1.0                                  // 00000000CD7C: D1010007 0001E507
	v_rcp_f32_e32 v4, v4                                       // 00000000CD84: 7E084504
	v_rcp_f32_e32 v5, v5                                       // 00000000CD88: 7E0A4505
	v_rcp_f32_e32 v6, v6                                       // 00000000CD8C: 7E0C4506
	v_rcp_f32_e32 v7, v7                                       // 00000000CD90: 7E0E4507
	v_mul_f32_e32 v56, v56, v4                                 // 00000000CD94: 0A700938
	v_mul_f32_e32 v57, v57, v5                                 // 00000000CD98: 0A720B39
	v_mul_f32_e32 v58, v58, v6                                 // 00000000CD9C: 0A740D3A
	v_mul_f32_e32 v59, v59, v7                                 // 00000000CDA0: 0A760F3B
	v_mul_f32_e32 v56, v56, v152                               // 00000000CDA4: 0A713138
	v_mul_f32_e32 v57, v57, v153                               // 00000000CDA8: 0A733339
	v_mul_f32_e32 v58, v58, v154                               // 00000000CDAC: 0A75353A
	v_mul_f32_e32 v59, v59, v155                               // 00000000CDB0: 0A77373B
	v_mul_f32_e64 v4, -v60, s6                                 // 00000000CDB4: D1050004 20000D3C
	v_mul_f32_e64 v5, -v61, s6                                 // 00000000CDBC: D1050005 20000D3D
	v_mul_f32_e64 v6, -v62, s6                                 // 00000000CDC4: D1050006 20000D3E
	v_mul_f32_e64 v7, -v63, s6                                 // 00000000CDCC: D1050007 20000D3F
	v_exp_f32_e32 v4, v4                                       // 00000000CDD4: 7E084104
	v_exp_f32_e32 v5, v5                                       // 00000000CDD8: 7E0A4105
	v_exp_f32_e32 v6, v6                                       // 00000000CDDC: 7E0C4106
	v_exp_f32_e32 v7, v7                                       // 00000000CDE0: 7E0E4107
	v_add_f32_e64 v4, v4, 1.0                                  // 00000000CDE4: D1010004 0001E504
	v_add_f32_e64 v5, v5, 1.0                                  // 00000000CDEC: D1010005 0001E505
	v_add_f32_e64 v6, v6, 1.0                                  // 00000000CDF4: D1010006 0001E506
	v_add_f32_e64 v7, v7, 1.0                                  // 00000000CDFC: D1010007 0001E507
	v_rcp_f32_e32 v4, v4                                       // 00000000CE04: 7E084504
	v_rcp_f32_e32 v5, v5                                       // 00000000CE08: 7E0A4505
	v_rcp_f32_e32 v6, v6                                       // 00000000CE0C: 7E0C4506
	v_rcp_f32_e32 v7, v7                                       // 00000000CE10: 7E0E4507
	v_mul_f32_e32 v60, v60, v4                                 // 00000000CE14: 0A78093C
	v_mul_f32_e32 v61, v61, v5                                 // 00000000CE18: 0A7A0B3D
	v_mul_f32_e32 v62, v62, v6                                 // 00000000CE1C: 0A7C0D3E
	v_mul_f32_e32 v63, v63, v7                                 // 00000000CE20: 0A7E0F3F
	v_mul_f32_e32 v60, v60, v156                               // 00000000CE24: 0A79393C
	v_mul_f32_e32 v61, v61, v157                               // 00000000CE28: 0A7B3B3D
	v_mul_f32_e32 v62, v62, v158                               // 00000000CE2C: 0A7D3D3E
	v_mul_f32_e32 v63, v63, v159                               // 00000000CE30: 0A7F3F3F
	v_mul_f32_e64 v4, -v64, s6                                 // 00000000CE34: D1050004 20000D40
	v_mul_f32_e64 v5, -v65, s6                                 // 00000000CE3C: D1050005 20000D41
	v_mul_f32_e64 v6, -v66, s6                                 // 00000000CE44: D1050006 20000D42
	v_mul_f32_e64 v7, -v67, s6                                 // 00000000CE4C: D1050007 20000D43
	v_exp_f32_e32 v4, v4                                       // 00000000CE54: 7E084104
	v_exp_f32_e32 v5, v5                                       // 00000000CE58: 7E0A4105
	v_exp_f32_e32 v6, v6                                       // 00000000CE5C: 7E0C4106
	v_exp_f32_e32 v7, v7                                       // 00000000CE60: 7E0E4107
	v_add_f32_e64 v4, v4, 1.0                                  // 00000000CE64: D1010004 0001E504
	v_add_f32_e64 v5, v5, 1.0                                  // 00000000CE6C: D1010005 0001E505
	v_add_f32_e64 v6, v6, 1.0                                  // 00000000CE74: D1010006 0001E506
	v_add_f32_e64 v7, v7, 1.0                                  // 00000000CE7C: D1010007 0001E507
	v_rcp_f32_e32 v4, v4                                       // 00000000CE84: 7E084504
	v_rcp_f32_e32 v5, v5                                       // 00000000CE88: 7E0A4505
	v_rcp_f32_e32 v6, v6                                       // 00000000CE8C: 7E0C4506
	v_rcp_f32_e32 v7, v7                                       // 00000000CE90: 7E0E4507
	v_mul_f32_e32 v64, v64, v4                                 // 00000000CE94: 0A800940
	v_mul_f32_e32 v65, v65, v5                                 // 00000000CE98: 0A820B41
	v_mul_f32_e32 v66, v66, v6                                 // 00000000CE9C: 0A840D42
	v_mul_f32_e32 v67, v67, v7                                 // 00000000CEA0: 0A860F43
	v_mul_f32_e32 v64, v64, v160                               // 00000000CEA4: 0A814140
	v_mul_f32_e32 v65, v65, v161                               // 00000000CEA8: 0A834341
	v_mul_f32_e32 v66, v66, v162                               // 00000000CEAC: 0A854542
	v_mul_f32_e32 v67, v67, v163                               // 00000000CEB0: 0A874743
	v_mul_f32_e64 v4, -v68, s6                                 // 00000000CEB4: D1050004 20000D44
	v_mul_f32_e64 v5, -v69, s6                                 // 00000000CEBC: D1050005 20000D45
	v_mul_f32_e64 v6, -v70, s6                                 // 00000000CEC4: D1050006 20000D46
	v_mul_f32_e64 v7, -v71, s6                                 // 00000000CECC: D1050007 20000D47
	v_exp_f32_e32 v4, v4                                       // 00000000CED4: 7E084104
	v_exp_f32_e32 v5, v5                                       // 00000000CED8: 7E0A4105
	v_exp_f32_e32 v6, v6                                       // 00000000CEDC: 7E0C4106
	v_exp_f32_e32 v7, v7                                       // 00000000CEE0: 7E0E4107
	v_add_f32_e64 v4, v4, 1.0                                  // 00000000CEE4: D1010004 0001E504
	v_add_f32_e64 v5, v5, 1.0                                  // 00000000CEEC: D1010005 0001E505
	v_add_f32_e64 v6, v6, 1.0                                  // 00000000CEF4: D1010006 0001E506
	v_add_f32_e64 v7, v7, 1.0                                  // 00000000CEFC: D1010007 0001E507
	v_rcp_f32_e32 v4, v4                                       // 00000000CF04: 7E084504
	v_rcp_f32_e32 v5, v5                                       // 00000000CF08: 7E0A4505
	v_rcp_f32_e32 v6, v6                                       // 00000000CF0C: 7E0C4506
	v_rcp_f32_e32 v7, v7                                       // 00000000CF10: 7E0E4507
	v_mul_f32_e32 v68, v68, v4                                 // 00000000CF14: 0A880944
	v_mul_f32_e32 v69, v69, v5                                 // 00000000CF18: 0A8A0B45
	v_mul_f32_e32 v70, v70, v6                                 // 00000000CF1C: 0A8C0D46
	v_mul_f32_e32 v71, v71, v7                                 // 00000000CF20: 0A8E0F47
	v_mul_f32_e32 v68, v68, v164                               // 00000000CF24: 0A894944
	v_mul_f32_e32 v69, v69, v165                               // 00000000CF28: 0A8B4B45
	v_mul_f32_e32 v70, v70, v166                               // 00000000CF2C: 0A8D4D46
	v_mul_f32_e32 v71, v71, v167                               // 00000000CF30: 0A8F4F47
	v_mul_f32_e64 v4, -v72, s6                                 // 00000000CF34: D1050004 20000D48
	v_mul_f32_e64 v5, -v73, s6                                 // 00000000CF3C: D1050005 20000D49
	v_mul_f32_e64 v6, -v74, s6                                 // 00000000CF44: D1050006 20000D4A
	v_mul_f32_e64 v7, -v75, s6                                 // 00000000CF4C: D1050007 20000D4B
	v_exp_f32_e32 v4, v4                                       // 00000000CF54: 7E084104
	v_exp_f32_e32 v5, v5                                       // 00000000CF58: 7E0A4105
	v_exp_f32_e32 v6, v6                                       // 00000000CF5C: 7E0C4106
	v_exp_f32_e32 v7, v7                                       // 00000000CF60: 7E0E4107
	v_add_f32_e64 v4, v4, 1.0                                  // 00000000CF64: D1010004 0001E504
	v_add_f32_e64 v5, v5, 1.0                                  // 00000000CF6C: D1010005 0001E505
	v_add_f32_e64 v6, v6, 1.0                                  // 00000000CF74: D1010006 0001E506
	v_add_f32_e64 v7, v7, 1.0                                  // 00000000CF7C: D1010007 0001E507
	v_rcp_f32_e32 v4, v4                                       // 00000000CF84: 7E084504
	v_rcp_f32_e32 v5, v5                                       // 00000000CF88: 7E0A4505
	v_rcp_f32_e32 v6, v6                                       // 00000000CF8C: 7E0C4506
	v_rcp_f32_e32 v7, v7                                       // 00000000CF90: 7E0E4507
	v_mul_f32_e32 v72, v72, v4                                 // 00000000CF94: 0A900948
	v_mul_f32_e32 v73, v73, v5                                 // 00000000CF98: 0A920B49
	v_mul_f32_e32 v74, v74, v6                                 // 00000000CF9C: 0A940D4A
	v_mul_f32_e32 v75, v75, v7                                 // 00000000CFA0: 0A960F4B
	v_mul_f32_e32 v72, v72, v168                               // 00000000CFA4: 0A915148
	v_mul_f32_e32 v73, v73, v169                               // 00000000CFA8: 0A935349
	v_mul_f32_e32 v74, v74, v170                               // 00000000CFAC: 0A95554A
	v_mul_f32_e32 v75, v75, v171                               // 00000000CFB0: 0A97574B
	v_mul_f32_e64 v4, -v76, s6                                 // 00000000CFB4: D1050004 20000D4C
	v_mul_f32_e64 v5, -v77, s6                                 // 00000000CFBC: D1050005 20000D4D
	v_mul_f32_e64 v6, -v78, s6                                 // 00000000CFC4: D1050006 20000D4E
	v_mul_f32_e64 v7, -v79, s6                                 // 00000000CFCC: D1050007 20000D4F
	v_exp_f32_e32 v4, v4                                       // 00000000CFD4: 7E084104
	v_exp_f32_e32 v5, v5                                       // 00000000CFD8: 7E0A4105
	v_exp_f32_e32 v6, v6                                       // 00000000CFDC: 7E0C4106
	v_exp_f32_e32 v7, v7                                       // 00000000CFE0: 7E0E4107
	v_add_f32_e64 v4, v4, 1.0                                  // 00000000CFE4: D1010004 0001E504
	v_add_f32_e64 v5, v5, 1.0                                  // 00000000CFEC: D1010005 0001E505
	v_add_f32_e64 v6, v6, 1.0                                  // 00000000CFF4: D1010006 0001E506
	v_add_f32_e64 v7, v7, 1.0                                  // 00000000CFFC: D1010007 0001E507
	v_rcp_f32_e32 v4, v4                                       // 00000000D004: 7E084504
	v_rcp_f32_e32 v5, v5                                       // 00000000D008: 7E0A4505
	v_rcp_f32_e32 v6, v6                                       // 00000000D00C: 7E0C4506
	v_rcp_f32_e32 v7, v7                                       // 00000000D010: 7E0E4507
	v_mul_f32_e32 v76, v76, v4                                 // 00000000D014: 0A98094C
	v_mul_f32_e32 v77, v77, v5                                 // 00000000D018: 0A9A0B4D
	v_mul_f32_e32 v78, v78, v6                                 // 00000000D01C: 0A9C0D4E
	v_mul_f32_e32 v79, v79, v7                                 // 00000000D020: 0A9E0F4F
	v_mul_f32_e32 v76, v76, v172                               // 00000000D024: 0A99594C
	v_mul_f32_e32 v77, v77, v173                               // 00000000D028: 0A9B5B4D
	v_mul_f32_e32 v78, v78, v174                               // 00000000D02C: 0A9D5D4E
	v_mul_f32_e32 v79, v79, v175                               // 00000000D030: 0A9F5F4F
	v_mul_f32_e64 v4, -v80, s6                                 // 00000000D034: D1050004 20000D50
	v_mul_f32_e64 v5, -v81, s6                                 // 00000000D03C: D1050005 20000D51
	v_mul_f32_e64 v6, -v82, s6                                 // 00000000D044: D1050006 20000D52
	v_mul_f32_e64 v7, -v83, s6                                 // 00000000D04C: D1050007 20000D53
	v_exp_f32_e32 v4, v4                                       // 00000000D054: 7E084104
	v_exp_f32_e32 v5, v5                                       // 00000000D058: 7E0A4105
	v_exp_f32_e32 v6, v6                                       // 00000000D05C: 7E0C4106
	v_exp_f32_e32 v7, v7                                       // 00000000D060: 7E0E4107
	v_add_f32_e64 v4, v4, 1.0                                  // 00000000D064: D1010004 0001E504
	v_add_f32_e64 v5, v5, 1.0                                  // 00000000D06C: D1010005 0001E505
	v_add_f32_e64 v6, v6, 1.0                                  // 00000000D074: D1010006 0001E506
	v_add_f32_e64 v7, v7, 1.0                                  // 00000000D07C: D1010007 0001E507
	v_rcp_f32_e32 v4, v4                                       // 00000000D084: 7E084504
	v_rcp_f32_e32 v5, v5                                       // 00000000D088: 7E0A4505
	v_rcp_f32_e32 v6, v6                                       // 00000000D08C: 7E0C4506
	v_rcp_f32_e32 v7, v7                                       // 00000000D090: 7E0E4507
	v_mul_f32_e32 v80, v80, v4                                 // 00000000D094: 0AA00950
	v_mul_f32_e32 v81, v81, v5                                 // 00000000D098: 0AA20B51
	v_mul_f32_e32 v82, v82, v6                                 // 00000000D09C: 0AA40D52
	v_mul_f32_e32 v83, v83, v7                                 // 00000000D0A0: 0AA60F53
	v_mul_f32_e32 v80, v80, v176                               // 00000000D0A4: 0AA16150
	v_mul_f32_e32 v81, v81, v177                               // 00000000D0A8: 0AA36351
	v_mul_f32_e32 v82, v82, v178                               // 00000000D0AC: 0AA56552
	v_mul_f32_e32 v83, v83, v179                               // 00000000D0B0: 0AA76753
	v_mul_f32_e64 v4, -v84, s6                                 // 00000000D0B4: D1050004 20000D54
	v_mul_f32_e64 v5, -v85, s6                                 // 00000000D0BC: D1050005 20000D55
	v_mul_f32_e64 v6, -v86, s6                                 // 00000000D0C4: D1050006 20000D56
	v_mul_f32_e64 v7, -v87, s6                                 // 00000000D0CC: D1050007 20000D57
	v_exp_f32_e32 v4, v4                                       // 00000000D0D4: 7E084104
	v_exp_f32_e32 v5, v5                                       // 00000000D0D8: 7E0A4105
	v_exp_f32_e32 v6, v6                                       // 00000000D0DC: 7E0C4106
	v_exp_f32_e32 v7, v7                                       // 00000000D0E0: 7E0E4107
	v_add_f32_e64 v4, v4, 1.0                                  // 00000000D0E4: D1010004 0001E504
	v_add_f32_e64 v5, v5, 1.0                                  // 00000000D0EC: D1010005 0001E505
	v_add_f32_e64 v6, v6, 1.0                                  // 00000000D0F4: D1010006 0001E506
	v_add_f32_e64 v7, v7, 1.0                                  // 00000000D0FC: D1010007 0001E507
	v_rcp_f32_e32 v4, v4                                       // 00000000D104: 7E084504
	v_rcp_f32_e32 v5, v5                                       // 00000000D108: 7E0A4505
	v_rcp_f32_e32 v6, v6                                       // 00000000D10C: 7E0C4506
	v_rcp_f32_e32 v7, v7                                       // 00000000D110: 7E0E4507
	v_mul_f32_e32 v84, v84, v4                                 // 00000000D114: 0AA80954
	v_mul_f32_e32 v85, v85, v5                                 // 00000000D118: 0AAA0B55
	v_mul_f32_e32 v86, v86, v6                                 // 00000000D11C: 0AAC0D56
	v_mul_f32_e32 v87, v87, v7                                 // 00000000D120: 0AAE0F57
	v_mul_f32_e32 v84, v84, v180                               // 00000000D124: 0AA96954
	v_mul_f32_e32 v85, v85, v181                               // 00000000D128: 0AAB6B55
	v_mul_f32_e32 v86, v86, v182                               // 00000000D12C: 0AAD6D56
	v_mul_f32_e32 v87, v87, v183                               // 00000000D130: 0AAF6F57
	v_mul_f32_e64 v4, -v88, s6                                 // 00000000D134: D1050004 20000D58
	v_mul_f32_e64 v5, -v89, s6                                 // 00000000D13C: D1050005 20000D59
	v_mul_f32_e64 v6, -v90, s6                                 // 00000000D144: D1050006 20000D5A
	v_mul_f32_e64 v7, -v91, s6                                 // 00000000D14C: D1050007 20000D5B
	v_exp_f32_e32 v4, v4                                       // 00000000D154: 7E084104
	v_exp_f32_e32 v5, v5                                       // 00000000D158: 7E0A4105
	v_exp_f32_e32 v6, v6                                       // 00000000D15C: 7E0C4106
	v_exp_f32_e32 v7, v7                                       // 00000000D160: 7E0E4107
	v_add_f32_e64 v4, v4, 1.0                                  // 00000000D164: D1010004 0001E504
	v_add_f32_e64 v5, v5, 1.0                                  // 00000000D16C: D1010005 0001E505
	v_add_f32_e64 v6, v6, 1.0                                  // 00000000D174: D1010006 0001E506
	v_add_f32_e64 v7, v7, 1.0                                  // 00000000D17C: D1010007 0001E507
	v_rcp_f32_e32 v4, v4                                       // 00000000D184: 7E084504
	v_rcp_f32_e32 v5, v5                                       // 00000000D188: 7E0A4505
	v_rcp_f32_e32 v6, v6                                       // 00000000D18C: 7E0C4506
	v_rcp_f32_e32 v7, v7                                       // 00000000D190: 7E0E4507
	v_mul_f32_e32 v88, v88, v4                                 // 00000000D194: 0AB00958
	v_mul_f32_e32 v89, v89, v5                                 // 00000000D198: 0AB20B59
	v_mul_f32_e32 v90, v90, v6                                 // 00000000D19C: 0AB40D5A
	v_mul_f32_e32 v91, v91, v7                                 // 00000000D1A0: 0AB60F5B
	v_mul_f32_e32 v88, v88, v184                               // 00000000D1A4: 0AB17158
	v_mul_f32_e32 v89, v89, v185                               // 00000000D1A8: 0AB37359
	v_mul_f32_e32 v90, v90, v186                               // 00000000D1AC: 0AB5755A
	v_mul_f32_e32 v91, v91, v187                               // 00000000D1B0: 0AB7775B
	v_mul_f32_e64 v4, -v92, s6                                 // 00000000D1B4: D1050004 20000D5C
	v_mul_f32_e64 v5, -v93, s6                                 // 00000000D1BC: D1050005 20000D5D
	v_mul_f32_e64 v6, -v94, s6                                 // 00000000D1C4: D1050006 20000D5E
	v_mul_f32_e64 v7, -v95, s6                                 // 00000000D1CC: D1050007 20000D5F
	v_exp_f32_e32 v4, v4                                       // 00000000D1D4: 7E084104
	v_exp_f32_e32 v5, v5                                       // 00000000D1D8: 7E0A4105
	v_exp_f32_e32 v6, v6                                       // 00000000D1DC: 7E0C4106
	v_exp_f32_e32 v7, v7                                       // 00000000D1E0: 7E0E4107
	v_add_f32_e64 v4, v4, 1.0                                  // 00000000D1E4: D1010004 0001E504
	v_add_f32_e64 v5, v5, 1.0                                  // 00000000D1EC: D1010005 0001E505
	v_add_f32_e64 v6, v6, 1.0                                  // 00000000D1F4: D1010006 0001E506
	v_add_f32_e64 v7, v7, 1.0                                  // 00000000D1FC: D1010007 0001E507
	v_rcp_f32_e32 v4, v4                                       // 00000000D204: 7E084504
	v_rcp_f32_e32 v5, v5                                       // 00000000D208: 7E0A4505
	v_rcp_f32_e32 v6, v6                                       // 00000000D20C: 7E0C4506
	v_rcp_f32_e32 v7, v7                                       // 00000000D210: 7E0E4507
	v_mul_f32_e32 v92, v92, v4                                 // 00000000D214: 0AB8095C
	v_mul_f32_e32 v93, v93, v5                                 // 00000000D218: 0ABA0B5D
	v_mul_f32_e32 v94, v94, v6                                 // 00000000D21C: 0ABC0D5E
	v_mul_f32_e32 v95, v95, v7                                 // 00000000D220: 0ABE0F5F
	v_mul_f32_e32 v92, v92, v188                               // 00000000D224: 0AB9795C
	v_mul_f32_e32 v93, v93, v189                               // 00000000D228: 0ABB7B5D
	v_mul_f32_e32 v94, v94, v190                               // 00000000D22C: 0ABD7D5E
	v_mul_f32_e32 v95, v95, v191                               // 00000000D230: 0ABF7F5F
	v_mul_f32_e64 v4, -v96, s6                                 // 00000000D234: D1050004 20000D60
	v_mul_f32_e64 v5, -v97, s6                                 // 00000000D23C: D1050005 20000D61
	v_mul_f32_e64 v6, -v98, s6                                 // 00000000D244: D1050006 20000D62
	v_mul_f32_e64 v7, -v99, s6                                 // 00000000D24C: D1050007 20000D63
	v_exp_f32_e32 v4, v4                                       // 00000000D254: 7E084104
	v_exp_f32_e32 v5, v5                                       // 00000000D258: 7E0A4105
	v_exp_f32_e32 v6, v6                                       // 00000000D25C: 7E0C4106
	v_exp_f32_e32 v7, v7                                       // 00000000D260: 7E0E4107
	v_add_f32_e64 v4, v4, 1.0                                  // 00000000D264: D1010004 0001E504
	v_add_f32_e64 v5, v5, 1.0                                  // 00000000D26C: D1010005 0001E505
	v_add_f32_e64 v6, v6, 1.0                                  // 00000000D274: D1010006 0001E506
	v_add_f32_e64 v7, v7, 1.0                                  // 00000000D27C: D1010007 0001E507
	v_rcp_f32_e32 v4, v4                                       // 00000000D284: 7E084504
	v_rcp_f32_e32 v5, v5                                       // 00000000D288: 7E0A4505
	v_rcp_f32_e32 v6, v6                                       // 00000000D28C: 7E0C4506
	v_rcp_f32_e32 v7, v7                                       // 00000000D290: 7E0E4507
	v_mul_f32_e32 v96, v96, v4                                 // 00000000D294: 0AC00960
	v_mul_f32_e32 v97, v97, v5                                 // 00000000D298: 0AC20B61
	v_mul_f32_e32 v98, v98, v6                                 // 00000000D29C: 0AC40D62
	v_mul_f32_e32 v99, v99, v7                                 // 00000000D2A0: 0AC60F63
	v_mul_f32_e32 v96, v96, v192                               // 00000000D2A4: 0AC18160
	v_mul_f32_e32 v97, v97, v193                               // 00000000D2A8: 0AC38361
	v_mul_f32_e32 v98, v98, v194                               // 00000000D2AC: 0AC58562
	v_mul_f32_e32 v99, v99, v195                               // 00000000D2B0: 0AC78763
	v_mul_f32_e64 v4, -v100, s6                                // 00000000D2B4: D1050004 20000D64
	v_mul_f32_e64 v5, -v101, s6                                // 00000000D2BC: D1050005 20000D65
	v_mul_f32_e64 v6, -v102, s6                                // 00000000D2C4: D1050006 20000D66
	v_mul_f32_e64 v7, -v103, s6                                // 00000000D2CC: D1050007 20000D67
	v_exp_f32_e32 v4, v4                                       // 00000000D2D4: 7E084104
	v_exp_f32_e32 v5, v5                                       // 00000000D2D8: 7E0A4105
	v_exp_f32_e32 v6, v6                                       // 00000000D2DC: 7E0C4106
	v_exp_f32_e32 v7, v7                                       // 00000000D2E0: 7E0E4107
	v_add_f32_e64 v4, v4, 1.0                                  // 00000000D2E4: D1010004 0001E504
	v_add_f32_e64 v5, v5, 1.0                                  // 00000000D2EC: D1010005 0001E505
	v_add_f32_e64 v6, v6, 1.0                                  // 00000000D2F4: D1010006 0001E506
	v_add_f32_e64 v7, v7, 1.0                                  // 00000000D2FC: D1010007 0001E507
	v_rcp_f32_e32 v4, v4                                       // 00000000D304: 7E084504
	v_rcp_f32_e32 v5, v5                                       // 00000000D308: 7E0A4505
	v_rcp_f32_e32 v6, v6                                       // 00000000D30C: 7E0C4506
	v_rcp_f32_e32 v7, v7                                       // 00000000D310: 7E0E4507
	v_mul_f32_e32 v100, v100, v4                               // 00000000D314: 0AC80964
	v_mul_f32_e32 v101, v101, v5                               // 00000000D318: 0ACA0B65
	v_mul_f32_e32 v102, v102, v6                               // 00000000D31C: 0ACC0D66
	v_mul_f32_e32 v103, v103, v7                               // 00000000D320: 0ACE0F67
	v_mul_f32_e32 v100, v100, v196                             // 00000000D324: 0AC98964
	v_mul_f32_e32 v101, v101, v197                             // 00000000D328: 0ACB8B65
	v_mul_f32_e32 v102, v102, v198                             // 00000000D32C: 0ACD8D66
	v_mul_f32_e32 v103, v103, v199                             // 00000000D330: 0ACF8F67
	v_mul_f32_e64 v4, -v104, s6                                // 00000000D334: D1050004 20000D68
	v_mul_f32_e64 v5, -v105, s6                                // 00000000D33C: D1050005 20000D69
	v_mul_f32_e64 v6, -v106, s6                                // 00000000D344: D1050006 20000D6A
	v_mul_f32_e64 v7, -v107, s6                                // 00000000D34C: D1050007 20000D6B
	v_exp_f32_e32 v4, v4                                       // 00000000D354: 7E084104
	v_exp_f32_e32 v5, v5                                       // 00000000D358: 7E0A4105
	v_exp_f32_e32 v6, v6                                       // 00000000D35C: 7E0C4106
	v_exp_f32_e32 v7, v7                                       // 00000000D360: 7E0E4107
	v_add_f32_e64 v4, v4, 1.0                                  // 00000000D364: D1010004 0001E504
	v_add_f32_e64 v5, v5, 1.0                                  // 00000000D36C: D1010005 0001E505
	v_add_f32_e64 v6, v6, 1.0                                  // 00000000D374: D1010006 0001E506
	v_add_f32_e64 v7, v7, 1.0                                  // 00000000D37C: D1010007 0001E507
	v_rcp_f32_e32 v4, v4                                       // 00000000D384: 7E084504
	v_rcp_f32_e32 v5, v5                                       // 00000000D388: 7E0A4505
	v_rcp_f32_e32 v6, v6                                       // 00000000D38C: 7E0C4506
	v_rcp_f32_e32 v7, v7                                       // 00000000D390: 7E0E4507
	v_mul_f32_e32 v104, v104, v4                               // 00000000D394: 0AD00968
	v_mul_f32_e32 v105, v105, v5                               // 00000000D398: 0AD20B69
	v_mul_f32_e32 v106, v106, v6                               // 00000000D39C: 0AD40D6A
	v_mul_f32_e32 v107, v107, v7                               // 00000000D3A0: 0AD60F6B
	v_mul_f32_e32 v104, v104, v200                             // 00000000D3A4: 0AD19168
	v_mul_f32_e32 v105, v105, v201                             // 00000000D3A8: 0AD39369
	v_mul_f32_e32 v106, v106, v202                             // 00000000D3AC: 0AD5956A
	v_mul_f32_e32 v107, v107, v203                             // 00000000D3B0: 0AD7976B
	v_mul_f32_e64 v4, -v108, s6                                // 00000000D3B4: D1050004 20000D6C
	v_mul_f32_e64 v5, -v109, s6                                // 00000000D3BC: D1050005 20000D6D
	v_mul_f32_e64 v6, -v110, s6                                // 00000000D3C4: D1050006 20000D6E
	v_mul_f32_e64 v7, -v111, s6                                // 00000000D3CC: D1050007 20000D6F
	v_exp_f32_e32 v4, v4                                       // 00000000D3D4: 7E084104
	v_exp_f32_e32 v5, v5                                       // 00000000D3D8: 7E0A4105
	v_exp_f32_e32 v6, v6                                       // 00000000D3DC: 7E0C4106
	v_exp_f32_e32 v7, v7                                       // 00000000D3E0: 7E0E4107
	v_add_f32_e64 v4, v4, 1.0                                  // 00000000D3E4: D1010004 0001E504
	v_add_f32_e64 v5, v5, 1.0                                  // 00000000D3EC: D1010005 0001E505
	v_add_f32_e64 v6, v6, 1.0                                  // 00000000D3F4: D1010006 0001E506
	v_add_f32_e64 v7, v7, 1.0                                  // 00000000D3FC: D1010007 0001E507
	v_rcp_f32_e32 v4, v4                                       // 00000000D404: 7E084504
	v_rcp_f32_e32 v5, v5                                       // 00000000D408: 7E0A4505
	v_rcp_f32_e32 v6, v6                                       // 00000000D40C: 7E0C4506
	v_rcp_f32_e32 v7, v7                                       // 00000000D410: 7E0E4507
	v_mul_f32_e32 v108, v108, v4                               // 00000000D414: 0AD8096C
	v_mul_f32_e32 v109, v109, v5                               // 00000000D418: 0ADA0B6D
	v_mul_f32_e32 v110, v110, v6                               // 00000000D41C: 0ADC0D6E
	v_mul_f32_e32 v111, v111, v7                               // 00000000D420: 0ADE0F6F
	v_mul_f32_e32 v108, v108, v204                             // 00000000D424: 0AD9996C
	v_mul_f32_e32 v109, v109, v205                             // 00000000D428: 0ADB9B6D
	v_mul_f32_e32 v110, v110, v206                             // 00000000D42C: 0ADD9D6E
	v_mul_f32_e32 v111, v111, v207                             // 00000000D430: 0ADF9F6F
	v_mul_f32_e64 v4, -v112, s6                                // 00000000D434: D1050004 20000D70
	v_mul_f32_e64 v5, -v113, s6                                // 00000000D43C: D1050005 20000D71
	v_mul_f32_e64 v6, -v114, s6                                // 00000000D444: D1050006 20000D72
	v_mul_f32_e64 v7, -v115, s6                                // 00000000D44C: D1050007 20000D73
	v_exp_f32_e32 v4, v4                                       // 00000000D454: 7E084104
	v_exp_f32_e32 v5, v5                                       // 00000000D458: 7E0A4105
	v_exp_f32_e32 v6, v6                                       // 00000000D45C: 7E0C4106
	v_exp_f32_e32 v7, v7                                       // 00000000D460: 7E0E4107
	v_add_f32_e64 v4, v4, 1.0                                  // 00000000D464: D1010004 0001E504
	v_add_f32_e64 v5, v5, 1.0                                  // 00000000D46C: D1010005 0001E505
	v_add_f32_e64 v6, v6, 1.0                                  // 00000000D474: D1010006 0001E506
	v_add_f32_e64 v7, v7, 1.0                                  // 00000000D47C: D1010007 0001E507
	v_rcp_f32_e32 v4, v4                                       // 00000000D484: 7E084504
	v_rcp_f32_e32 v5, v5                                       // 00000000D488: 7E0A4505
	v_rcp_f32_e32 v6, v6                                       // 00000000D48C: 7E0C4506
	v_rcp_f32_e32 v7, v7                                       // 00000000D490: 7E0E4507
	v_mul_f32_e32 v112, v112, v4                               // 00000000D494: 0AE00970
	v_mul_f32_e32 v113, v113, v5                               // 00000000D498: 0AE20B71
	v_mul_f32_e32 v114, v114, v6                               // 00000000D49C: 0AE40D72
	v_mul_f32_e32 v115, v115, v7                               // 00000000D4A0: 0AE60F73
	v_mul_f32_e32 v112, v112, v208                             // 00000000D4A4: 0AE1A170
	v_mul_f32_e32 v113, v113, v209                             // 00000000D4A8: 0AE3A371
	v_mul_f32_e32 v114, v114, v210                             // 00000000D4AC: 0AE5A572
	v_mul_f32_e32 v115, v115, v211                             // 00000000D4B0: 0AE7A773
	v_mul_f32_e64 v4, -v116, s6                                // 00000000D4B4: D1050004 20000D74
	v_mul_f32_e64 v5, -v117, s6                                // 00000000D4BC: D1050005 20000D75
	v_mul_f32_e64 v6, -v118, s6                                // 00000000D4C4: D1050006 20000D76
	v_mul_f32_e64 v7, -v119, s6                                // 00000000D4CC: D1050007 20000D77
	v_exp_f32_e32 v4, v4                                       // 00000000D4D4: 7E084104
	v_exp_f32_e32 v5, v5                                       // 00000000D4D8: 7E0A4105
	v_exp_f32_e32 v6, v6                                       // 00000000D4DC: 7E0C4106
	v_exp_f32_e32 v7, v7                                       // 00000000D4E0: 7E0E4107
	v_add_f32_e64 v4, v4, 1.0                                  // 00000000D4E4: D1010004 0001E504
	v_add_f32_e64 v5, v5, 1.0                                  // 00000000D4EC: D1010005 0001E505
	v_add_f32_e64 v6, v6, 1.0                                  // 00000000D4F4: D1010006 0001E506
	v_add_f32_e64 v7, v7, 1.0                                  // 00000000D4FC: D1010007 0001E507
	v_rcp_f32_e32 v4, v4                                       // 00000000D504: 7E084504
	v_rcp_f32_e32 v5, v5                                       // 00000000D508: 7E0A4505
	v_rcp_f32_e32 v6, v6                                       // 00000000D50C: 7E0C4506
	v_rcp_f32_e32 v7, v7                                       // 00000000D510: 7E0E4507
	v_mul_f32_e32 v116, v116, v4                               // 00000000D514: 0AE80974
	v_mul_f32_e32 v117, v117, v5                               // 00000000D518: 0AEA0B75
	v_mul_f32_e32 v118, v118, v6                               // 00000000D51C: 0AEC0D76
	v_mul_f32_e32 v119, v119, v7                               // 00000000D520: 0AEE0F77
	v_mul_f32_e32 v116, v116, v212                             // 00000000D524: 0AE9A974
	v_mul_f32_e32 v117, v117, v213                             // 00000000D528: 0AEBAB75
	v_mul_f32_e32 v118, v118, v214                             // 00000000D52C: 0AEDAD76
	v_mul_f32_e32 v119, v119, v215                             // 00000000D530: 0AEFAF77
	v_mul_f32_e64 v4, -v120, s6                                // 00000000D534: D1050004 20000D78
	v_mul_f32_e64 v5, -v121, s6                                // 00000000D53C: D1050005 20000D79
	v_mul_f32_e64 v6, -v122, s6                                // 00000000D544: D1050006 20000D7A
	v_mul_f32_e64 v7, -v123, s6                                // 00000000D54C: D1050007 20000D7B
	v_exp_f32_e32 v4, v4                                       // 00000000D554: 7E084104
	v_exp_f32_e32 v5, v5                                       // 00000000D558: 7E0A4105
	v_exp_f32_e32 v6, v6                                       // 00000000D55C: 7E0C4106
	v_exp_f32_e32 v7, v7                                       // 00000000D560: 7E0E4107
	v_add_f32_e64 v4, v4, 1.0                                  // 00000000D564: D1010004 0001E504
	v_add_f32_e64 v5, v5, 1.0                                  // 00000000D56C: D1010005 0001E505
	v_add_f32_e64 v6, v6, 1.0                                  // 00000000D574: D1010006 0001E506
	v_add_f32_e64 v7, v7, 1.0                                  // 00000000D57C: D1010007 0001E507
	v_rcp_f32_e32 v4, v4                                       // 00000000D584: 7E084504
	v_rcp_f32_e32 v5, v5                                       // 00000000D588: 7E0A4505
	v_rcp_f32_e32 v6, v6                                       // 00000000D58C: 7E0C4506
	v_rcp_f32_e32 v7, v7                                       // 00000000D590: 7E0E4507
	v_mul_f32_e32 v120, v120, v4                               // 00000000D594: 0AF00978
	v_mul_f32_e32 v121, v121, v5                               // 00000000D598: 0AF20B79
	v_mul_f32_e32 v122, v122, v6                               // 00000000D59C: 0AF40D7A
	v_mul_f32_e32 v123, v123, v7                               // 00000000D5A0: 0AF60F7B
	v_mul_f32_e32 v120, v120, v216                             // 00000000D5A4: 0AF1B178
	v_mul_f32_e32 v121, v121, v217                             // 00000000D5A8: 0AF3B379
	v_mul_f32_e32 v122, v122, v218                             // 00000000D5AC: 0AF5B57A
	v_mul_f32_e32 v123, v123, v219                             // 00000000D5B0: 0AF7B77B
	v_mul_f32_e64 v4, -v124, s6                                // 00000000D5B4: D1050004 20000D7C
	v_mul_f32_e64 v5, -v125, s6                                // 00000000D5BC: D1050005 20000D7D
	v_mul_f32_e64 v6, -v126, s6                                // 00000000D5C4: D1050006 20000D7E
	v_mul_f32_e64 v7, -v127, s6                                // 00000000D5CC: D1050007 20000D7F
	v_exp_f32_e32 v4, v4                                       // 00000000D5D4: 7E084104
	v_exp_f32_e32 v5, v5                                       // 00000000D5D8: 7E0A4105
	v_exp_f32_e32 v6, v6                                       // 00000000D5DC: 7E0C4106
	v_exp_f32_e32 v7, v7                                       // 00000000D5E0: 7E0E4107
	v_add_f32_e64 v4, v4, 1.0                                  // 00000000D5E4: D1010004 0001E504
	v_add_f32_e64 v5, v5, 1.0                                  // 00000000D5EC: D1010005 0001E505
	v_add_f32_e64 v6, v6, 1.0                                  // 00000000D5F4: D1010006 0001E506
	v_add_f32_e64 v7, v7, 1.0                                  // 00000000D5FC: D1010007 0001E507
	v_rcp_f32_e32 v4, v4                                       // 00000000D604: 7E084504
	v_rcp_f32_e32 v5, v5                                       // 00000000D608: 7E0A4505
	v_rcp_f32_e32 v6, v6                                       // 00000000D60C: 7E0C4506
	v_rcp_f32_e32 v7, v7                                       // 00000000D610: 7E0E4507
	v_mul_f32_e32 v124, v124, v4                               // 00000000D614: 0AF8097C
	v_mul_f32_e32 v125, v125, v5                               // 00000000D618: 0AFA0B7D
	v_mul_f32_e32 v126, v126, v6                               // 00000000D61C: 0AFC0D7E
	v_mul_f32_e32 v127, v127, v7                               // 00000000D620: 0AFE0F7F
	v_mul_f32_e32 v124, v124, v220                             // 00000000D624: 0AF9B97C
	v_mul_f32_e32 v125, v125, v221                             // 00000000D628: 0AFBBB7D
	v_mul_f32_e32 v126, v126, v222                             // 00000000D62C: 0AFDBD7E
	v_mul_f32_e32 v127, v127, v223                             // 00000000D630: 0AFFBF7F
	v_mul_f32_e64 v4, -v128, s6                                // 00000000D634: D1050004 20000D80
	v_mul_f32_e64 v5, -v129, s6                                // 00000000D63C: D1050005 20000D81
	v_mul_f32_e64 v6, -v130, s6                                // 00000000D644: D1050006 20000D82
	v_mul_f32_e64 v7, -v131, s6                                // 00000000D64C: D1050007 20000D83
	v_exp_f32_e32 v4, v4                                       // 00000000D654: 7E084104
	v_exp_f32_e32 v5, v5                                       // 00000000D658: 7E0A4105
	v_exp_f32_e32 v6, v6                                       // 00000000D65C: 7E0C4106
	v_exp_f32_e32 v7, v7                                       // 00000000D660: 7E0E4107
	v_add_f32_e64 v4, v4, 1.0                                  // 00000000D664: D1010004 0001E504
	v_add_f32_e64 v5, v5, 1.0                                  // 00000000D66C: D1010005 0001E505
	v_add_f32_e64 v6, v6, 1.0                                  // 00000000D674: D1010006 0001E506
	v_add_f32_e64 v7, v7, 1.0                                  // 00000000D67C: D1010007 0001E507
	v_rcp_f32_e32 v4, v4                                       // 00000000D684: 7E084504
	v_rcp_f32_e32 v5, v5                                       // 00000000D688: 7E0A4505
	v_rcp_f32_e32 v6, v6                                       // 00000000D68C: 7E0C4506
	v_rcp_f32_e32 v7, v7                                       // 00000000D690: 7E0E4507
	v_mul_f32_e32 v128, v128, v4                               // 00000000D694: 0B000980
	v_mul_f32_e32 v129, v129, v5                               // 00000000D698: 0B020B81
	v_mul_f32_e32 v130, v130, v6                               // 00000000D69C: 0B040D82
	v_mul_f32_e32 v131, v131, v7                               // 00000000D6A0: 0B060F83
	v_mul_f32_e32 v128, v128, v224                             // 00000000D6A4: 0B01C180
	v_mul_f32_e32 v129, v129, v225                             // 00000000D6A8: 0B03C381
	v_mul_f32_e32 v130, v130, v226                             // 00000000D6AC: 0B05C582
	v_mul_f32_e32 v131, v131, v227                             // 00000000D6B0: 0B07C783
	v_mul_f32_e64 v4, -v132, s6                                // 00000000D6B4: D1050004 20000D84
	v_mul_f32_e64 v5, -v133, s6                                // 00000000D6BC: D1050005 20000D85
	v_mul_f32_e64 v6, -v134, s6                                // 00000000D6C4: D1050006 20000D86
	v_mul_f32_e64 v7, -v135, s6                                // 00000000D6CC: D1050007 20000D87
	v_exp_f32_e32 v4, v4                                       // 00000000D6D4: 7E084104
	v_exp_f32_e32 v5, v5                                       // 00000000D6D8: 7E0A4105
	v_exp_f32_e32 v6, v6                                       // 00000000D6DC: 7E0C4106
	v_exp_f32_e32 v7, v7                                       // 00000000D6E0: 7E0E4107
	v_add_f32_e64 v4, v4, 1.0                                  // 00000000D6E4: D1010004 0001E504
	v_add_f32_e64 v5, v5, 1.0                                  // 00000000D6EC: D1010005 0001E505
	v_add_f32_e64 v6, v6, 1.0                                  // 00000000D6F4: D1010006 0001E506
	v_add_f32_e64 v7, v7, 1.0                                  // 00000000D6FC: D1010007 0001E507
	v_rcp_f32_e32 v4, v4                                       // 00000000D704: 7E084504
	v_rcp_f32_e32 v5, v5                                       // 00000000D708: 7E0A4505
	v_rcp_f32_e32 v6, v6                                       // 00000000D70C: 7E0C4506
	v_rcp_f32_e32 v7, v7                                       // 00000000D710: 7E0E4507
	v_mul_f32_e32 v132, v132, v4                               // 00000000D714: 0B080984
	v_mul_f32_e32 v133, v133, v5                               // 00000000D718: 0B0A0B85
	v_mul_f32_e32 v134, v134, v6                               // 00000000D71C: 0B0C0D86
	v_mul_f32_e32 v135, v135, v7                               // 00000000D720: 0B0E0F87
	v_mul_f32_e32 v132, v132, v228                             // 00000000D724: 0B09C984
	v_mul_f32_e32 v133, v133, v229                             // 00000000D728: 0B0BCB85
	v_mul_f32_e32 v134, v134, v230                             // 00000000D72C: 0B0DCD86
	v_mul_f32_e32 v135, v135, v231                             // 00000000D730: 0B0FCF87
	v_mul_f32_e64 v4, -v136, s6                                // 00000000D734: D1050004 20000D88
	v_mul_f32_e64 v5, -v137, s6                                // 00000000D73C: D1050005 20000D89
	v_mul_f32_e64 v6, -v138, s6                                // 00000000D744: D1050006 20000D8A
	v_mul_f32_e64 v7, -v139, s6                                // 00000000D74C: D1050007 20000D8B
	v_exp_f32_e32 v4, v4                                       // 00000000D754: 7E084104
	v_exp_f32_e32 v5, v5                                       // 00000000D758: 7E0A4105
	v_exp_f32_e32 v6, v6                                       // 00000000D75C: 7E0C4106
	v_exp_f32_e32 v7, v7                                       // 00000000D760: 7E0E4107
	v_add_f32_e64 v4, v4, 1.0                                  // 00000000D764: D1010004 0001E504
	v_add_f32_e64 v5, v5, 1.0                                  // 00000000D76C: D1010005 0001E505
	v_add_f32_e64 v6, v6, 1.0                                  // 00000000D774: D1010006 0001E506
	v_add_f32_e64 v7, v7, 1.0                                  // 00000000D77C: D1010007 0001E507
	v_rcp_f32_e32 v4, v4                                       // 00000000D784: 7E084504
	v_rcp_f32_e32 v5, v5                                       // 00000000D788: 7E0A4505
	v_rcp_f32_e32 v6, v6                                       // 00000000D78C: 7E0C4506
	v_rcp_f32_e32 v7, v7                                       // 00000000D790: 7E0E4507
	v_mul_f32_e32 v136, v136, v4                               // 00000000D794: 0B100988
	v_mul_f32_e32 v137, v137, v5                               // 00000000D798: 0B120B89
	v_mul_f32_e32 v138, v138, v6                               // 00000000D79C: 0B140D8A
	v_mul_f32_e32 v139, v139, v7                               // 00000000D7A0: 0B160F8B
	v_mul_f32_e32 v136, v136, v232                             // 00000000D7A4: 0B11D188
	v_mul_f32_e32 v137, v137, v233                             // 00000000D7A8: 0B13D389
	v_mul_f32_e32 v138, v138, v234                             // 00000000D7AC: 0B15D58A
	v_mul_f32_e32 v139, v139, v235                             // 00000000D7B0: 0B17D78B
	v_mul_f32_e64 v4, -v140, s6                                // 00000000D7B4: D1050004 20000D8C
	v_mul_f32_e64 v5, -v141, s6                                // 00000000D7BC: D1050005 20000D8D
	v_mul_f32_e64 v6, -v142, s6                                // 00000000D7C4: D1050006 20000D8E
	v_mul_f32_e64 v7, -v143, s6                                // 00000000D7CC: D1050007 20000D8F
	v_exp_f32_e32 v4, v4                                       // 00000000D7D4: 7E084104
	v_exp_f32_e32 v5, v5                                       // 00000000D7D8: 7E0A4105
	v_exp_f32_e32 v6, v6                                       // 00000000D7DC: 7E0C4106
	v_exp_f32_e32 v7, v7                                       // 00000000D7E0: 7E0E4107
	v_add_f32_e64 v4, v4, 1.0                                  // 00000000D7E4: D1010004 0001E504
	v_add_f32_e64 v5, v5, 1.0                                  // 00000000D7EC: D1010005 0001E505
	v_add_f32_e64 v6, v6, 1.0                                  // 00000000D7F4: D1010006 0001E506
	v_add_f32_e64 v7, v7, 1.0                                  // 00000000D7FC: D1010007 0001E507
	v_rcp_f32_e32 v4, v4                                       // 00000000D804: 7E084504
	v_rcp_f32_e32 v5, v5                                       // 00000000D808: 7E0A4505
	v_rcp_f32_e32 v6, v6                                       // 00000000D80C: 7E0C4506
	v_rcp_f32_e32 v7, v7                                       // 00000000D810: 7E0E4507
	v_mul_f32_e32 v140, v140, v4                               // 00000000D814: 0B18098C
	v_mul_f32_e32 v141, v141, v5                               // 00000000D818: 0B1A0B8D
	v_mul_f32_e32 v142, v142, v6                               // 00000000D81C: 0B1C0D8E
	v_mul_f32_e32 v143, v143, v7                               // 00000000D820: 0B1E0F8F
	v_mul_f32_e32 v140, v140, v236                             // 00000000D824: 0B19D98C
	v_mul_f32_e32 v141, v141, v237                             // 00000000D828: 0B1BDB8D
	v_mul_f32_e32 v142, v142, v238                             // 00000000D82C: 0B1DDD8E
	v_mul_f32_e32 v143, v143, v239                             // 00000000D830: 0B1FDF8F
	v_mul_f32_e64 v4, -v144, s6                                // 00000000D834: D1050004 20000D90
	v_mul_f32_e64 v5, -v145, s6                                // 00000000D83C: D1050005 20000D91
	v_mul_f32_e64 v6, -v146, s6                                // 00000000D844: D1050006 20000D92
	v_mul_f32_e64 v7, -v147, s6                                // 00000000D84C: D1050007 20000D93
	v_exp_f32_e32 v4, v4                                       // 00000000D854: 7E084104
	v_exp_f32_e32 v5, v5                                       // 00000000D858: 7E0A4105
	v_exp_f32_e32 v6, v6                                       // 00000000D85C: 7E0C4106
	v_exp_f32_e32 v7, v7                                       // 00000000D860: 7E0E4107
	v_add_f32_e64 v4, v4, 1.0                                  // 00000000D864: D1010004 0001E504
	v_add_f32_e64 v5, v5, 1.0                                  // 00000000D86C: D1010005 0001E505
	v_add_f32_e64 v6, v6, 1.0                                  // 00000000D874: D1010006 0001E506
	v_add_f32_e64 v7, v7, 1.0                                  // 00000000D87C: D1010007 0001E507
	v_rcp_f32_e32 v4, v4                                       // 00000000D884: 7E084504
	v_rcp_f32_e32 v5, v5                                       // 00000000D888: 7E0A4505
	v_rcp_f32_e32 v6, v6                                       // 00000000D88C: 7E0C4506
	v_rcp_f32_e32 v7, v7                                       // 00000000D890: 7E0E4507
	v_mul_f32_e32 v144, v144, v4                               // 00000000D894: 0B200990
	v_mul_f32_e32 v145, v145, v5                               // 00000000D898: 0B220B91
	v_mul_f32_e32 v146, v146, v6                               // 00000000D89C: 0B240D92
	v_mul_f32_e32 v147, v147, v7                               // 00000000D8A0: 0B260F93
	v_mul_f32_e32 v144, v144, v240                             // 00000000D8A4: 0B21E190
	v_mul_f32_e32 v145, v145, v241                             // 00000000D8A8: 0B23E391
	v_mul_f32_e32 v146, v146, v242                             // 00000000D8AC: 0B25E592
	v_mul_f32_e32 v147, v147, v243                             // 00000000D8B0: 0B27E793
	v_mul_f32_e64 v4, -v148, s6                                // 00000000D8B4: D1050004 20000D94
	v_mul_f32_e64 v5, -v149, s6                                // 00000000D8BC: D1050005 20000D95
	v_mul_f32_e64 v6, -v150, s6                                // 00000000D8C4: D1050006 20000D96
	v_mul_f32_e64 v7, -v151, s6                                // 00000000D8CC: D1050007 20000D97
	v_exp_f32_e32 v4, v4                                       // 00000000D8D4: 7E084104
	v_exp_f32_e32 v5, v5                                       // 00000000D8D8: 7E0A4105
	v_exp_f32_e32 v6, v6                                       // 00000000D8DC: 7E0C4106
	v_exp_f32_e32 v7, v7                                       // 00000000D8E0: 7E0E4107
	v_add_f32_e64 v4, v4, 1.0                                  // 00000000D8E4: D1010004 0001E504
	v_add_f32_e64 v5, v5, 1.0                                  // 00000000D8EC: D1010005 0001E505
	v_add_f32_e64 v6, v6, 1.0                                  // 00000000D8F4: D1010006 0001E506
	v_add_f32_e64 v7, v7, 1.0                                  // 00000000D8FC: D1010007 0001E507
	v_rcp_f32_e32 v4, v4                                       // 00000000D904: 7E084504
	v_rcp_f32_e32 v5, v5                                       // 00000000D908: 7E0A4505
	v_rcp_f32_e32 v6, v6                                       // 00000000D90C: 7E0C4506
	v_rcp_f32_e32 v7, v7                                       // 00000000D910: 7E0E4507
	v_mul_f32_e32 v148, v148, v4                               // 00000000D914: 0B280994
	v_mul_f32_e32 v149, v149, v5                               // 00000000D918: 0B2A0B95
	v_mul_f32_e32 v150, v150, v6                               // 00000000D91C: 0B2C0D96
	v_mul_f32_e32 v151, v151, v7                               // 00000000D920: 0B2E0F97
	v_mul_f32_e32 v148, v148, v244                             // 00000000D924: 0B29E994
	v_mul_f32_e32 v149, v149, v245                             // 00000000D928: 0B2BEB95
	v_mul_f32_e32 v150, v150, v246                             // 00000000D92C: 0B2DED96
	v_mul_f32_e32 v151, v151, v247                             // 00000000D930: 0B2FEF97

000000000000d934 <label_2BD0>:
	s_cmp_eq_u32 s7, 0                                         // 00000000D934: BF068007
	s_cbranch_scc0 label_2BDD                                  // 00000000D938: BF84000B
	v_and_b32_e32 v4, 15, v0                                   // 00000000D93C: 2608008F
	v_lshlrev_b32_e32 v4, 2, v4                                // 00000000D940: 24080882
	buffer_load_dword v28, v4, s[12:15], 0 offen               // 00000000D944: E0501000 80031C04
	v_add_u32_e32 v4, 64, v4                                   // 00000000D94C: 680808C0
	buffer_load_dword v29, v4, s[12:15], 0 offen               // 00000000D950: E0501000 80031D04
	v_add_u32_e32 v4, 64, v4                                   // 00000000D958: 680808C0
	buffer_load_dword v30, v4, s[12:15], 0 offen               // 00000000D95C: E0501000 80031E04
	v_add_u32_e32 v4, 64, v4                                   // 00000000D964: 680808C0

000000000000d968 <label_2BDD>:
	v_lshlrev_b32_e32 v4, 2, v0                                // 00000000D968: 24080082
	s_mul_i32 s60, 0x100, s7                                   // 00000000D96C: 923C07FF 00000100
	v_add_u32_e32 v164, s60, v4                                // 00000000D974: 6948083C
	v_and_b32_e32 v4, 15, v0                                   // 00000000D978: 2608008F
	v_lshlrev_b32_e32 v165, 2, v4                              // 00000000D97C: 254A0882
	s_waitcnt lgkmcnt(0)                                       // 00000000D980: BF8CC07F
	s_barrier                                                  // 00000000D984: BF8A0000
	v_mov_b32_e32 v152, 0x358637bd                             // 00000000D988: 7F3002FF 358637BD
	v_max3_f32 v152, |v56|, |v57|, v152                        // 00000000D990: D1D30398 06627338
	v_max3_f32 v152, |v58|, |v59|, v152                        // 00000000D998: D1D30398 0662773A
	v_max3_f32 v152, |v68|, |v69|, v152                        // 00000000D9A0: D1D30398 06628B44
	v_max3_f32 v152, |v70|, |v71|, v152                        // 00000000D9A8: D1D30398 06628F46
	ds_write_b32 v164, v152                                    // 00000000D9B0: D81A0000 000098A4
	s_waitcnt lgkmcnt(0)                                       // 00000000D9B8: BF8CC07F
	s_barrier                                                  // 00000000D9BC: BF8A0000
	ds_read_b32 v4, v165                                       // 00000000D9C0: D86C0000 040000A5
	ds_read_b32 v5, v165 offset:64                             // 00000000D9C8: D86C0040 050000A5
	ds_read_b32 v6, v165 offset:128                            // 00000000D9D0: D86C0080 060000A5
	ds_read_b32 v7, v165 offset:192                            // 00000000D9D8: D86C00C0 070000A5
	ds_read_b32 v8, v165 offset:256                            // 00000000D9E0: D86C0100 080000A5
	ds_read_b32 v9, v165 offset:320                            // 00000000D9E8: D86C0140 090000A5
	ds_read_b32 v10, v165 offset:384                           // 00000000D9F0: D86C0180 0A0000A5
	ds_read_b32 v11, v165 offset:448                           // 00000000D9F8: D86C01C0 0B0000A5
	ds_read_b32 v12, v165 offset:512                           // 00000000DA00: D86C0200 0C0000A5
	ds_read_b32 v13, v165 offset:576                           // 00000000DA08: D86C0240 0D0000A5
	ds_read_b32 v14, v165 offset:640                           // 00000000DA10: D86C0280 0E0000A5
	ds_read_b32 v15, v165 offset:704                           // 00000000DA18: D86C02C0 0F0000A5
	ds_read_b32 v16, v165 offset:768                           // 00000000DA20: D86C0300 100000A5
	ds_read_b32 v17, v165 offset:832                           // 00000000DA28: D86C0340 110000A5
	ds_read_b32 v18, v165 offset:896                           // 00000000DA30: D86C0380 120000A5
	ds_read_b32 v19, v165 offset:960                           // 00000000DA38: D86C03C0 130000A5
	s_waitcnt lgkmcnt(0)                                       // 00000000DA40: BF8CC07F
	s_barrier                                                  // 00000000DA44: BF8A0000
	v_max3_f32 v152, |v4|, |v5|, v152                          // 00000000DA48: D1D30398 06620B04
	v_max3_f32 v152, |v6|, |v7|, v152                          // 00000000DA50: D1D30398 06620F06
	v_max3_f32 v152, |v8|, |v9|, v152                          // 00000000DA58: D1D30398 06621308
	v_max3_f32 v152, |v10|, |v11|, v152                        // 00000000DA60: D1D30398 0662170A
	v_max3_f32 v152, |v12|, |v13|, v152                        // 00000000DA68: D1D30398 06621B0C
	v_max3_f32 v152, |v14|, |v15|, v152                        // 00000000DA70: D1D30398 06621F0E
	v_max3_f32 v152, |v16|, |v17|, v152                        // 00000000DA78: D1D30398 06622310
	v_max3_f32 v152, |v18|, |v19|, v152                        // 00000000DA80: D1D30398 06622712
	v_rcp_f32_e32 v152, v152                                   // 00000000DA88: 7F304598
	v_mov_b32_e32 v4, 0x43700000                               // 00000000DA8C: 7E0802FF 43700000
	v_mul_f32_e32 v152, v4, v152                               // 00000000DA94: 0B313104
	v_mov_b32_e32 v4, v152                                     // 00000000DA98: 7E080398
	v_mov_b32_e32 v5, v4                                       // 00000000DA9C: 7E0A0304
	v_pk_mul_f32 v[56:57], v[4:5], v[56:57]                    // 00000000DAA0: D3B14038 18027104
	v_pk_mul_f32 v[58:59], v[4:5], v[58:59]                    // 00000000DAA8: D3B1403A 18027504
	v_cvt_pk_fp8_f32 v56, v56, v57                             // 00000000DAB0: D2A20038 00027338
	v_cvt_pk_fp8_f32 v56, v58, v59 op_sel:[0,0,1]              // 00000000DAB8: D2A24038 0002773A
	v_pk_mul_f32 v[68:69], v[4:5], v[68:69]                    // 00000000DAC0: D3B14044 18028904
	v_pk_mul_f32 v[70:71], v[4:5], v[70:71]                    // 00000000DAC8: D3B14046 18028D04
	v_cvt_pk_fp8_f32 v68, v68, v69                             // 00000000DAD0: D2A20044 00028B44
	v_cvt_pk_fp8_f32 v68, v70, v71 op_sel:[0,0,1]              // 00000000DAD8: D2A24044 00028F46
	v_rcp_f32_e32 v152, v152                                   // 00000000DAE0: 7F304598
	v_mov_b32_e32 v155, 0x358637bd                             // 00000000DAE4: 7F3602FF 358637BD
	v_max3_f32 v155, |v80|, |v81|, v155                        // 00000000DAEC: D1D3039B 066EA350
	v_max3_f32 v155, |v82|, |v83|, v155                        // 00000000DAF4: D1D3039B 066EA752
	v_max3_f32 v155, |v92|, |v93|, v155                        // 00000000DAFC: D1D3039B 066EBB5C
	v_max3_f32 v155, |v94|, |v95|, v155                        // 00000000DB04: D1D3039B 066EBF5E
	ds_write_b32 v164, v155                                    // 00000000DB0C: D81A0000 00009BA4
	s_waitcnt lgkmcnt(0)                                       // 00000000DB14: BF8CC07F
	s_barrier                                                  // 00000000DB18: BF8A0000
	ds_read_b32 v4, v165                                       // 00000000DB1C: D86C0000 040000A5
	ds_read_b32 v5, v165 offset:64                             // 00000000DB24: D86C0040 050000A5
	ds_read_b32 v6, v165 offset:128                            // 00000000DB2C: D86C0080 060000A5
	ds_read_b32 v7, v165 offset:192                            // 00000000DB34: D86C00C0 070000A5
	ds_read_b32 v8, v165 offset:256                            // 00000000DB3C: D86C0100 080000A5
	ds_read_b32 v9, v165 offset:320                            // 00000000DB44: D86C0140 090000A5
	ds_read_b32 v10, v165 offset:384                           // 00000000DB4C: D86C0180 0A0000A5
	ds_read_b32 v11, v165 offset:448                           // 00000000DB54: D86C01C0 0B0000A5
	ds_read_b32 v12, v165 offset:512                           // 00000000DB5C: D86C0200 0C0000A5
	ds_read_b32 v13, v165 offset:576                           // 00000000DB64: D86C0240 0D0000A5
	ds_read_b32 v14, v165 offset:640                           // 00000000DB6C: D86C0280 0E0000A5
	ds_read_b32 v15, v165 offset:704                           // 00000000DB74: D86C02C0 0F0000A5
	ds_read_b32 v16, v165 offset:768                           // 00000000DB7C: D86C0300 100000A5
	ds_read_b32 v17, v165 offset:832                           // 00000000DB84: D86C0340 110000A5
	ds_read_b32 v18, v165 offset:896                           // 00000000DB8C: D86C0380 120000A5
	ds_read_b32 v19, v165 offset:960                           // 00000000DB94: D86C03C0 130000A5
	s_waitcnt lgkmcnt(0)                                       // 00000000DB9C: BF8CC07F
	s_barrier                                                  // 00000000DBA0: BF8A0000
	v_max3_f32 v155, |v4|, |v5|, v155                          // 00000000DBA4: D1D3039B 066E0B04
	v_max3_f32 v155, |v6|, |v7|, v155                          // 00000000DBAC: D1D3039B 066E0F06
	v_max3_f32 v155, |v8|, |v9|, v155                          // 00000000DBB4: D1D3039B 066E1308
	v_max3_f32 v155, |v10|, |v11|, v155                        // 00000000DBBC: D1D3039B 066E170A
	v_max3_f32 v155, |v12|, |v13|, v155                        // 00000000DBC4: D1D3039B 066E1B0C
	v_max3_f32 v155, |v14|, |v15|, v155                        // 00000000DBCC: D1D3039B 066E1F0E
	v_max3_f32 v155, |v16|, |v17|, v155                        // 00000000DBD4: D1D3039B 066E2310
	v_max3_f32 v155, |v18|, |v19|, v155                        // 00000000DBDC: D1D3039B 066E2712
	v_rcp_f32_e32 v155, v155                                   // 00000000DBE4: 7F36459B
	v_mov_b32_e32 v4, 0x43700000                               // 00000000DBE8: 7E0802FF 43700000
	v_mul_f32_e32 v155, v4, v155                               // 00000000DBF0: 0B373704
	v_mov_b32_e32 v4, v155                                     // 00000000DBF4: 7E08039B
	v_mov_b32_e32 v5, v4                                       // 00000000DBF8: 7E0A0304
	v_pk_mul_f32 v[80:81], v[4:5], v[80:81]                    // 00000000DBFC: D3B14050 1802A104
	v_pk_mul_f32 v[82:83], v[4:5], v[82:83]                    // 00000000DC04: D3B14052 1802A504
	v_cvt_pk_fp8_f32 v80, v80, v81                             // 00000000DC0C: D2A20050 0002A350
	v_cvt_pk_fp8_f32 v80, v82, v83 op_sel:[0,0,1]              // 00000000DC14: D2A24050 0002A752
	v_pk_mul_f32 v[92:93], v[4:5], v[92:93]                    // 00000000DC1C: D3B1405C 1802B904
	v_pk_mul_f32 v[94:95], v[4:5], v[94:95]                    // 00000000DC24: D3B1405E 1802BD04
	v_cvt_pk_fp8_f32 v92, v92, v93                             // 00000000DC2C: D2A2005C 0002BB5C
	v_cvt_pk_fp8_f32 v92, v94, v95 op_sel:[0,0,1]              // 00000000DC34: D2A2405C 0002BF5E
	v_rcp_f32_e32 v155, v155                                   // 00000000DC3C: 7F36459B
	v_mov_b32_e32 v158, 0x358637bd                             // 00000000DC40: 7F3C02FF 358637BD
	v_max3_f32 v158, |v104|, |v105|, v158                      // 00000000DC48: D1D3039E 067AD368
	v_max3_f32 v158, |v106|, |v107|, v158                      // 00000000DC50: D1D3039E 067AD76A
	v_max3_f32 v158, |v116|, |v117|, v158                      // 00000000DC58: D1D3039E 067AEB74
	v_max3_f32 v158, |v118|, |v119|, v158                      // 00000000DC60: D1D3039E 067AEF76
	ds_write_b32 v164, v158                                    // 00000000DC68: D81A0000 00009EA4
	s_waitcnt lgkmcnt(0)                                       // 00000000DC70: BF8CC07F
	s_barrier                                                  // 00000000DC74: BF8A0000
	ds_read_b32 v4, v165                                       // 00000000DC78: D86C0000 040000A5
	ds_read_b32 v5, v165 offset:64                             // 00000000DC80: D86C0040 050000A5
	ds_read_b32 v6, v165 offset:128                            // 00000000DC88: D86C0080 060000A5
	ds_read_b32 v7, v165 offset:192                            // 00000000DC90: D86C00C0 070000A5
	ds_read_b32 v8, v165 offset:256                            // 00000000DC98: D86C0100 080000A5
	ds_read_b32 v9, v165 offset:320                            // 00000000DCA0: D86C0140 090000A5
	ds_read_b32 v10, v165 offset:384                           // 00000000DCA8: D86C0180 0A0000A5
	ds_read_b32 v11, v165 offset:448                           // 00000000DCB0: D86C01C0 0B0000A5
	ds_read_b32 v12, v165 offset:512                           // 00000000DCB8: D86C0200 0C0000A5
	ds_read_b32 v13, v165 offset:576                           // 00000000DCC0: D86C0240 0D0000A5
	ds_read_b32 v14, v165 offset:640                           // 00000000DCC8: D86C0280 0E0000A5
	ds_read_b32 v15, v165 offset:704                           // 00000000DCD0: D86C02C0 0F0000A5
	ds_read_b32 v16, v165 offset:768                           // 00000000DCD8: D86C0300 100000A5
	ds_read_b32 v17, v165 offset:832                           // 00000000DCE0: D86C0340 110000A5
	ds_read_b32 v18, v165 offset:896                           // 00000000DCE8: D86C0380 120000A5
	ds_read_b32 v19, v165 offset:960                           // 00000000DCF0: D86C03C0 130000A5
	s_waitcnt lgkmcnt(0)                                       // 00000000DCF8: BF8CC07F
	s_barrier                                                  // 00000000DCFC: BF8A0000
	v_max3_f32 v158, |v4|, |v5|, v158                          // 00000000DD00: D1D3039E 067A0B04
	v_max3_f32 v158, |v6|, |v7|, v158                          // 00000000DD08: D1D3039E 067A0F06
	v_max3_f32 v158, |v8|, |v9|, v158                          // 00000000DD10: D1D3039E 067A1308
	v_max3_f32 v158, |v10|, |v11|, v158                        // 00000000DD18: D1D3039E 067A170A
	v_max3_f32 v158, |v12|, |v13|, v158                        // 00000000DD20: D1D3039E 067A1B0C
	v_max3_f32 v158, |v14|, |v15|, v158                        // 00000000DD28: D1D3039E 067A1F0E
	v_max3_f32 v158, |v16|, |v17|, v158                        // 00000000DD30: D1D3039E 067A2310
	v_max3_f32 v158, |v18|, |v19|, v158                        // 00000000DD38: D1D3039E 067A2712
	v_rcp_f32_e32 v158, v158                                   // 00000000DD40: 7F3C459E
	v_mov_b32_e32 v4, 0x43700000                               // 00000000DD44: 7E0802FF 43700000
	v_mul_f32_e32 v158, v4, v158                               // 00000000DD4C: 0B3D3D04
	v_mov_b32_e32 v4, v158                                     // 00000000DD50: 7E08039E
	v_mov_b32_e32 v5, v4                                       // 00000000DD54: 7E0A0304
	v_pk_mul_f32 v[104:105], v[4:5], v[104:105]                // 00000000DD58: D3B14068 1802D104
	v_pk_mul_f32 v[106:107], v[4:5], v[106:107]                // 00000000DD60: D3B1406A 1802D504
	v_cvt_pk_fp8_f32 v104, v104, v105                          // 00000000DD68: D2A20068 0002D368
	v_cvt_pk_fp8_f32 v104, v106, v107 op_sel:[0,0,1]           // 00000000DD70: D2A24068 0002D76A
	v_pk_mul_f32 v[116:117], v[4:5], v[116:117]                // 00000000DD78: D3B14074 1802E904
	v_pk_mul_f32 v[118:119], v[4:5], v[118:119]                // 00000000DD80: D3B14076 1802ED04
	v_cvt_pk_fp8_f32 v116, v116, v117                          // 00000000DD88: D2A20074 0002EB74
	v_cvt_pk_fp8_f32 v116, v118, v119 op_sel:[0,0,1]           // 00000000DD90: D2A24074 0002EF76
	v_rcp_f32_e32 v158, v158                                   // 00000000DD98: 7F3C459E
	v_mov_b32_e32 v161, 0x358637bd                             // 00000000DD9C: 7F4202FF 358637BD
	v_max3_f32 v161, |v128|, |v129|, v161                      // 00000000DDA4: D1D303A1 06870380
	v_max3_f32 v161, |v130|, |v131|, v161                      // 00000000DDAC: D1D303A1 06870782
	v_max3_f32 v161, |v140|, |v141|, v161                      // 00000000DDB4: D1D303A1 06871B8C
	v_max3_f32 v161, |v142|, |v143|, v161                      // 00000000DDBC: D1D303A1 06871F8E
	ds_write_b32 v164, v161                                    // 00000000DDC4: D81A0000 0000A1A4
	s_waitcnt lgkmcnt(0)                                       // 00000000DDCC: BF8CC07F
	s_barrier                                                  // 00000000DDD0: BF8A0000
	ds_read_b32 v4, v165                                       // 00000000DDD4: D86C0000 040000A5
	ds_read_b32 v5, v165 offset:64                             // 00000000DDDC: D86C0040 050000A5
	ds_read_b32 v6, v165 offset:128                            // 00000000DDE4: D86C0080 060000A5
	ds_read_b32 v7, v165 offset:192                            // 00000000DDEC: D86C00C0 070000A5
	ds_read_b32 v8, v165 offset:256                            // 00000000DDF4: D86C0100 080000A5
	ds_read_b32 v9, v165 offset:320                            // 00000000DDFC: D86C0140 090000A5
	ds_read_b32 v10, v165 offset:384                           // 00000000DE04: D86C0180 0A0000A5
	ds_read_b32 v11, v165 offset:448                           // 00000000DE0C: D86C01C0 0B0000A5
	ds_read_b32 v12, v165 offset:512                           // 00000000DE14: D86C0200 0C0000A5
	ds_read_b32 v13, v165 offset:576                           // 00000000DE1C: D86C0240 0D0000A5
	ds_read_b32 v14, v165 offset:640                           // 00000000DE24: D86C0280 0E0000A5
	ds_read_b32 v15, v165 offset:704                           // 00000000DE2C: D86C02C0 0F0000A5
	ds_read_b32 v16, v165 offset:768                           // 00000000DE34: D86C0300 100000A5
	ds_read_b32 v17, v165 offset:832                           // 00000000DE3C: D86C0340 110000A5
	ds_read_b32 v18, v165 offset:896                           // 00000000DE44: D86C0380 120000A5
	ds_read_b32 v19, v165 offset:960                           // 00000000DE4C: D86C03C0 130000A5
	s_waitcnt lgkmcnt(0)                                       // 00000000DE54: BF8CC07F
	s_barrier                                                  // 00000000DE58: BF8A0000
	v_max3_f32 v161, |v4|, |v5|, v161                          // 00000000DE5C: D1D303A1 06860B04
	v_max3_f32 v161, |v6|, |v7|, v161                          // 00000000DE64: D1D303A1 06860F06
	v_max3_f32 v161, |v8|, |v9|, v161                          // 00000000DE6C: D1D303A1 06861308
	v_max3_f32 v161, |v10|, |v11|, v161                        // 00000000DE74: D1D303A1 0686170A
	v_max3_f32 v161, |v12|, |v13|, v161                        // 00000000DE7C: D1D303A1 06861B0C
	v_max3_f32 v161, |v14|, |v15|, v161                        // 00000000DE84: D1D303A1 06861F0E
	v_max3_f32 v161, |v16|, |v17|, v161                        // 00000000DE8C: D1D303A1 06862310
	v_max3_f32 v161, |v18|, |v19|, v161                        // 00000000DE94: D1D303A1 06862712
	v_rcp_f32_e32 v161, v161                                   // 00000000DE9C: 7F4245A1
	v_mov_b32_e32 v4, 0x43700000                               // 00000000DEA0: 7E0802FF 43700000
	v_mul_f32_e32 v161, v4, v161                               // 00000000DEA8: 0B434304
	v_mov_b32_e32 v4, v161                                     // 00000000DEAC: 7E0803A1
	v_mov_b32_e32 v5, v4                                       // 00000000DEB0: 7E0A0304
	v_pk_mul_f32 v[128:129], v[4:5], v[128:129]                // 00000000DEB4: D3B14080 18030104
	v_pk_mul_f32 v[130:131], v[4:5], v[130:131]                // 00000000DEBC: D3B14082 18030504
	v_cvt_pk_fp8_f32 v128, v128, v129                          // 00000000DEC4: D2A20080 00030380
	v_cvt_pk_fp8_f32 v128, v130, v131 op_sel:[0,0,1]           // 00000000DECC: D2A24080 00030782
	v_pk_mul_f32 v[140:141], v[4:5], v[140:141]                // 00000000DED4: D3B1408C 18031904
	v_pk_mul_f32 v[142:143], v[4:5], v[142:143]                // 00000000DEDC: D3B1408E 18031D04
	v_cvt_pk_fp8_f32 v140, v140, v141                          // 00000000DEE4: D2A2008C 00031B8C
	v_cvt_pk_fp8_f32 v140, v142, v143 op_sel:[0,0,1]           // 00000000DEEC: D2A2408C 00031F8E
	v_rcp_f32_e32 v161, v161                                   // 00000000DEF4: 7F4245A1
	v_mov_b32_e32 v153, 0x358637bd                             // 00000000DEF8: 7F3202FF 358637BD
	v_max3_f32 v153, |v60|, |v61|, v153                        // 00000000DF00: D1D30399 06667B3C
	v_max3_f32 v153, |v62|, |v63|, v153                        // 00000000DF08: D1D30399 06667F3E
	v_max3_f32 v153, |v72|, |v73|, v153                        // 00000000DF10: D1D30399 06669348
	v_max3_f32 v153, |v74|, |v75|, v153                        // 00000000DF18: D1D30399 0666974A
	ds_write_b32 v164, v153                                    // 00000000DF20: D81A0000 000099A4
	s_waitcnt lgkmcnt(0)                                       // 00000000DF28: BF8CC07F
	s_barrier                                                  // 00000000DF2C: BF8A0000
	ds_read_b32 v4, v165                                       // 00000000DF30: D86C0000 040000A5
	ds_read_b32 v5, v165 offset:64                             // 00000000DF38: D86C0040 050000A5
	ds_read_b32 v6, v165 offset:128                            // 00000000DF40: D86C0080 060000A5
	ds_read_b32 v7, v165 offset:192                            // 00000000DF48: D86C00C0 070000A5
	ds_read_b32 v8, v165 offset:256                            // 00000000DF50: D86C0100 080000A5
	ds_read_b32 v9, v165 offset:320                            // 00000000DF58: D86C0140 090000A5
	ds_read_b32 v10, v165 offset:384                           // 00000000DF60: D86C0180 0A0000A5
	ds_read_b32 v11, v165 offset:448                           // 00000000DF68: D86C01C0 0B0000A5
	ds_read_b32 v12, v165 offset:512                           // 00000000DF70: D86C0200 0C0000A5
	ds_read_b32 v13, v165 offset:576                           // 00000000DF78: D86C0240 0D0000A5
	ds_read_b32 v14, v165 offset:640                           // 00000000DF80: D86C0280 0E0000A5
	ds_read_b32 v15, v165 offset:704                           // 00000000DF88: D86C02C0 0F0000A5
	ds_read_b32 v16, v165 offset:768                           // 00000000DF90: D86C0300 100000A5
	ds_read_b32 v17, v165 offset:832                           // 00000000DF98: D86C0340 110000A5
	ds_read_b32 v18, v165 offset:896                           // 00000000DFA0: D86C0380 120000A5
	ds_read_b32 v19, v165 offset:960                           // 00000000DFA8: D86C03C0 130000A5
	s_waitcnt lgkmcnt(0)                                       // 00000000DFB0: BF8CC07F
	s_barrier                                                  // 00000000DFB4: BF8A0000
	v_max3_f32 v153, |v4|, |v5|, v153                          // 00000000DFB8: D1D30399 06660B04
	v_max3_f32 v153, |v6|, |v7|, v153                          // 00000000DFC0: D1D30399 06660F06
	v_max3_f32 v153, |v8|, |v9|, v153                          // 00000000DFC8: D1D30399 06661308
	v_max3_f32 v153, |v10|, |v11|, v153                        // 00000000DFD0: D1D30399 0666170A
	v_max3_f32 v153, |v12|, |v13|, v153                        // 00000000DFD8: D1D30399 06661B0C
	v_max3_f32 v153, |v14|, |v15|, v153                        // 00000000DFE0: D1D30399 06661F0E
	v_max3_f32 v153, |v16|, |v17|, v153                        // 00000000DFE8: D1D30399 06662310
	v_max3_f32 v153, |v18|, |v19|, v153                        // 00000000DFF0: D1D30399 06662712
	v_rcp_f32_e32 v153, v153                                   // 00000000DFF8: 7F324599
	v_mov_b32_e32 v4, 0x43700000                               // 00000000DFFC: 7E0802FF 43700000
	v_mul_f32_e32 v153, v4, v153                               // 00000000E004: 0B333304
	v_mov_b32_e32 v4, v153                                     // 00000000E008: 7E080399
	v_mov_b32_e32 v5, v4                                       // 00000000E00C: 7E0A0304
	v_pk_mul_f32 v[60:61], v[4:5], v[60:61]                    // 00000000E010: D3B1403C 18027904
	v_pk_mul_f32 v[62:63], v[4:5], v[62:63]                    // 00000000E018: D3B1403E 18027D04
	v_cvt_pk_fp8_f32 v60, v60, v61                             // 00000000E020: D2A2003C 00027B3C
	v_cvt_pk_fp8_f32 v60, v62, v63 op_sel:[0,0,1]              // 00000000E028: D2A2403C 00027F3E
	v_pk_mul_f32 v[72:73], v[4:5], v[72:73]                    // 00000000E030: D3B14048 18029104
	v_pk_mul_f32 v[74:75], v[4:5], v[74:75]                    // 00000000E038: D3B1404A 18029504
	v_cvt_pk_fp8_f32 v72, v72, v73                             // 00000000E040: D2A20048 00029348
	v_cvt_pk_fp8_f32 v72, v74, v75 op_sel:[0,0,1]              // 00000000E048: D2A24048 0002974A
	v_rcp_f32_e32 v153, v153                                   // 00000000E050: 7F324599
	v_mov_b32_e32 v156, 0x358637bd                             // 00000000E054: 7F3802FF 358637BD
	v_max3_f32 v156, |v84|, |v85|, v156                        // 00000000E05C: D1D3039C 0672AB54
	v_max3_f32 v156, |v86|, |v87|, v156                        // 00000000E064: D1D3039C 0672AF56
	v_max3_f32 v156, |v96|, |v97|, v156                        // 00000000E06C: D1D3039C 0672C360
	v_max3_f32 v156, |v98|, |v99|, v156                        // 00000000E074: D1D3039C 0672C762
	ds_write_b32 v164, v156                                    // 00000000E07C: D81A0000 00009CA4
	s_waitcnt lgkmcnt(0)                                       // 00000000E084: BF8CC07F
	s_barrier                                                  // 00000000E088: BF8A0000
	ds_read_b32 v4, v165                                       // 00000000E08C: D86C0000 040000A5
	ds_read_b32 v5, v165 offset:64                             // 00000000E094: D86C0040 050000A5
	ds_read_b32 v6, v165 offset:128                            // 00000000E09C: D86C0080 060000A5
	ds_read_b32 v7, v165 offset:192                            // 00000000E0A4: D86C00C0 070000A5
	ds_read_b32 v8, v165 offset:256                            // 00000000E0AC: D86C0100 080000A5
	ds_read_b32 v9, v165 offset:320                            // 00000000E0B4: D86C0140 090000A5
	ds_read_b32 v10, v165 offset:384                           // 00000000E0BC: D86C0180 0A0000A5
	ds_read_b32 v11, v165 offset:448                           // 00000000E0C4: D86C01C0 0B0000A5
	ds_read_b32 v12, v165 offset:512                           // 00000000E0CC: D86C0200 0C0000A5
	ds_read_b32 v13, v165 offset:576                           // 00000000E0D4: D86C0240 0D0000A5
	ds_read_b32 v14, v165 offset:640                           // 00000000E0DC: D86C0280 0E0000A5
	ds_read_b32 v15, v165 offset:704                           // 00000000E0E4: D86C02C0 0F0000A5
	ds_read_b32 v16, v165 offset:768                           // 00000000E0EC: D86C0300 100000A5
	ds_read_b32 v17, v165 offset:832                           // 00000000E0F4: D86C0340 110000A5
	ds_read_b32 v18, v165 offset:896                           // 00000000E0FC: D86C0380 120000A5
	ds_read_b32 v19, v165 offset:960                           // 00000000E104: D86C03C0 130000A5
	s_waitcnt lgkmcnt(0)                                       // 00000000E10C: BF8CC07F
	s_barrier                                                  // 00000000E110: BF8A0000
	v_max3_f32 v156, |v4|, |v5|, v156                          // 00000000E114: D1D3039C 06720B04
	v_max3_f32 v156, |v6|, |v7|, v156                          // 00000000E11C: D1D3039C 06720F06
	v_max3_f32 v156, |v8|, |v9|, v156                          // 00000000E124: D1D3039C 06721308
	v_max3_f32 v156, |v10|, |v11|, v156                        // 00000000E12C: D1D3039C 0672170A
	v_max3_f32 v156, |v12|, |v13|, v156                        // 00000000E134: D1D3039C 06721B0C
	v_max3_f32 v156, |v14|, |v15|, v156                        // 00000000E13C: D1D3039C 06721F0E
	v_max3_f32 v156, |v16|, |v17|, v156                        // 00000000E144: D1D3039C 06722310
	v_max3_f32 v156, |v18|, |v19|, v156                        // 00000000E14C: D1D3039C 06722712
	v_rcp_f32_e32 v156, v156                                   // 00000000E154: 7F38459C
	v_mov_b32_e32 v4, 0x43700000                               // 00000000E158: 7E0802FF 43700000
	v_mul_f32_e32 v156, v4, v156                               // 00000000E160: 0B393904
	v_mov_b32_e32 v4, v156                                     // 00000000E164: 7E08039C
	v_mov_b32_e32 v5, v4                                       // 00000000E168: 7E0A0304
	v_pk_mul_f32 v[84:85], v[4:5], v[84:85]                    // 00000000E16C: D3B14054 1802A904
	v_pk_mul_f32 v[86:87], v[4:5], v[86:87]                    // 00000000E174: D3B14056 1802AD04
	v_cvt_pk_fp8_f32 v84, v84, v85                             // 00000000E17C: D2A20054 0002AB54
	v_cvt_pk_fp8_f32 v84, v86, v87 op_sel:[0,0,1]              // 00000000E184: D2A24054 0002AF56
	v_pk_mul_f32 v[96:97], v[4:5], v[96:97]                    // 00000000E18C: D3B14060 1802C104
	v_pk_mul_f32 v[98:99], v[4:5], v[98:99]                    // 00000000E194: D3B14062 1802C504
	v_cvt_pk_fp8_f32 v96, v96, v97                             // 00000000E19C: D2A20060 0002C360
	v_cvt_pk_fp8_f32 v96, v98, v99 op_sel:[0,0,1]              // 00000000E1A4: D2A24060 0002C762
	v_rcp_f32_e32 v156, v156                                   // 00000000E1AC: 7F38459C
	v_mov_b32_e32 v159, 0x358637bd                             // 00000000E1B0: 7F3E02FF 358637BD
	v_max3_f32 v159, |v108|, |v109|, v159                      // 00000000E1B8: D1D3039F 067EDB6C
	v_max3_f32 v159, |v110|, |v111|, v159                      // 00000000E1C0: D1D3039F 067EDF6E
	v_max3_f32 v159, |v120|, |v121|, v159                      // 00000000E1C8: D1D3039F 067EF378
	v_max3_f32 v159, |v122|, |v123|, v159                      // 00000000E1D0: D1D3039F 067EF77A
	ds_write_b32 v164, v159                                    // 00000000E1D8: D81A0000 00009FA4
	s_waitcnt lgkmcnt(0)                                       // 00000000E1E0: BF8CC07F
	s_barrier                                                  // 00000000E1E4: BF8A0000
	ds_read_b32 v4, v165                                       // 00000000E1E8: D86C0000 040000A5
	ds_read_b32 v5, v165 offset:64                             // 00000000E1F0: D86C0040 050000A5
	ds_read_b32 v6, v165 offset:128                            // 00000000E1F8: D86C0080 060000A5
	ds_read_b32 v7, v165 offset:192                            // 00000000E200: D86C00C0 070000A5
	ds_read_b32 v8, v165 offset:256                            // 00000000E208: D86C0100 080000A5
	ds_read_b32 v9, v165 offset:320                            // 00000000E210: D86C0140 090000A5
	ds_read_b32 v10, v165 offset:384                           // 00000000E218: D86C0180 0A0000A5
	ds_read_b32 v11, v165 offset:448                           // 00000000E220: D86C01C0 0B0000A5
	ds_read_b32 v12, v165 offset:512                           // 00000000E228: D86C0200 0C0000A5
	ds_read_b32 v13, v165 offset:576                           // 00000000E230: D86C0240 0D0000A5
	ds_read_b32 v14, v165 offset:640                           // 00000000E238: D86C0280 0E0000A5
	ds_read_b32 v15, v165 offset:704                           // 00000000E240: D86C02C0 0F0000A5
	ds_read_b32 v16, v165 offset:768                           // 00000000E248: D86C0300 100000A5
	ds_read_b32 v17, v165 offset:832                           // 00000000E250: D86C0340 110000A5
	ds_read_b32 v18, v165 offset:896                           // 00000000E258: D86C0380 120000A5
	ds_read_b32 v19, v165 offset:960                           // 00000000E260: D86C03C0 130000A5
	s_waitcnt lgkmcnt(0)                                       // 00000000E268: BF8CC07F
	s_barrier                                                  // 00000000E26C: BF8A0000
	v_max3_f32 v159, |v4|, |v5|, v159                          // 00000000E270: D1D3039F 067E0B04
	v_max3_f32 v159, |v6|, |v7|, v159                          // 00000000E278: D1D3039F 067E0F06
	v_max3_f32 v159, |v8|, |v9|, v159                          // 00000000E280: D1D3039F 067E1308
	v_max3_f32 v159, |v10|, |v11|, v159                        // 00000000E288: D1D3039F 067E170A
	v_max3_f32 v159, |v12|, |v13|, v159                        // 00000000E290: D1D3039F 067E1B0C
	v_max3_f32 v159, |v14|, |v15|, v159                        // 00000000E298: D1D3039F 067E1F0E
	v_max3_f32 v159, |v16|, |v17|, v159                        // 00000000E2A0: D1D3039F 067E2310
	v_max3_f32 v159, |v18|, |v19|, v159                        // 00000000E2A8: D1D3039F 067E2712
	v_rcp_f32_e32 v159, v159                                   // 00000000E2B0: 7F3E459F
	v_mov_b32_e32 v4, 0x43700000                               // 00000000E2B4: 7E0802FF 43700000
	v_mul_f32_e32 v159, v4, v159                               // 00000000E2BC: 0B3F3F04
	v_mov_b32_e32 v4, v159                                     // 00000000E2C0: 7E08039F
	v_mov_b32_e32 v5, v4                                       // 00000000E2C4: 7E0A0304
	v_pk_mul_f32 v[108:109], v[4:5], v[108:109]                // 00000000E2C8: D3B1406C 1802D904
	v_pk_mul_f32 v[110:111], v[4:5], v[110:111]                // 00000000E2D0: D3B1406E 1802DD04
	v_cvt_pk_fp8_f32 v108, v108, v109                          // 00000000E2D8: D2A2006C 0002DB6C
	v_cvt_pk_fp8_f32 v108, v110, v111 op_sel:[0,0,1]           // 00000000E2E0: D2A2406C 0002DF6E
	v_pk_mul_f32 v[120:121], v[4:5], v[120:121]                // 00000000E2E8: D3B14078 1802F104
	v_pk_mul_f32 v[122:123], v[4:5], v[122:123]                // 00000000E2F0: D3B1407A 1802F504
	v_cvt_pk_fp8_f32 v120, v120, v121                          // 00000000E2F8: D2A20078 0002F378
	v_cvt_pk_fp8_f32 v120, v122, v123 op_sel:[0,0,1]           // 00000000E300: D2A24078 0002F77A
	v_rcp_f32_e32 v159, v159                                   // 00000000E308: 7F3E459F
	v_mov_b32_e32 v162, 0x358637bd                             // 00000000E30C: 7F4402FF 358637BD
	v_max3_f32 v162, |v132|, |v133|, v162                      // 00000000E314: D1D303A2 068B0B84
	v_max3_f32 v162, |v134|, |v135|, v162                      // 00000000E31C: D1D303A2 068B0F86
	v_max3_f32 v162, |v144|, |v145|, v162                      // 00000000E324: D1D303A2 068B2390
	v_max3_f32 v162, |v146|, |v147|, v162                      // 00000000E32C: D1D303A2 068B2792
	ds_write_b32 v164, v162                                    // 00000000E334: D81A0000 0000A2A4
	s_waitcnt lgkmcnt(0)                                       // 00000000E33C: BF8CC07F
	s_barrier                                                  // 00000000E340: BF8A0000
	ds_read_b32 v4, v165                                       // 00000000E344: D86C0000 040000A5
	ds_read_b32 v5, v165 offset:64                             // 00000000E34C: D86C0040 050000A5
	ds_read_b32 v6, v165 offset:128                            // 00000000E354: D86C0080 060000A5
	ds_read_b32 v7, v165 offset:192                            // 00000000E35C: D86C00C0 070000A5
	ds_read_b32 v8, v165 offset:256                            // 00000000E364: D86C0100 080000A5
	ds_read_b32 v9, v165 offset:320                            // 00000000E36C: D86C0140 090000A5
	ds_read_b32 v10, v165 offset:384                           // 00000000E374: D86C0180 0A0000A5
	ds_read_b32 v11, v165 offset:448                           // 00000000E37C: D86C01C0 0B0000A5
	ds_read_b32 v12, v165 offset:512                           // 00000000E384: D86C0200 0C0000A5
	ds_read_b32 v13, v165 offset:576                           // 00000000E38C: D86C0240 0D0000A5
	ds_read_b32 v14, v165 offset:640                           // 00000000E394: D86C0280 0E0000A5
	ds_read_b32 v15, v165 offset:704                           // 00000000E39C: D86C02C0 0F0000A5
	ds_read_b32 v16, v165 offset:768                           // 00000000E3A4: D86C0300 100000A5
	ds_read_b32 v17, v165 offset:832                           // 00000000E3AC: D86C0340 110000A5
	ds_read_b32 v18, v165 offset:896                           // 00000000E3B4: D86C0380 120000A5
	ds_read_b32 v19, v165 offset:960                           // 00000000E3BC: D86C03C0 130000A5
	s_waitcnt lgkmcnt(0)                                       // 00000000E3C4: BF8CC07F
	s_barrier                                                  // 00000000E3C8: BF8A0000
	v_max3_f32 v162, |v4|, |v5|, v162                          // 00000000E3CC: D1D303A2 068A0B04
	v_max3_f32 v162, |v6|, |v7|, v162                          // 00000000E3D4: D1D303A2 068A0F06
	v_max3_f32 v162, |v8|, |v9|, v162                          // 00000000E3DC: D1D303A2 068A1308
	v_max3_f32 v162, |v10|, |v11|, v162                        // 00000000E3E4: D1D303A2 068A170A
	v_max3_f32 v162, |v12|, |v13|, v162                        // 00000000E3EC: D1D303A2 068A1B0C
	v_max3_f32 v162, |v14|, |v15|, v162                        // 00000000E3F4: D1D303A2 068A1F0E
	v_max3_f32 v162, |v16|, |v17|, v162                        // 00000000E3FC: D1D303A2 068A2310
	v_max3_f32 v162, |v18|, |v19|, v162                        // 00000000E404: D1D303A2 068A2712
	v_rcp_f32_e32 v162, v162                                   // 00000000E40C: 7F4445A2
	v_mov_b32_e32 v4, 0x43700000                               // 00000000E410: 7E0802FF 43700000
	v_mul_f32_e32 v162, v4, v162                               // 00000000E418: 0B454504
	v_mov_b32_e32 v4, v162                                     // 00000000E41C: 7E0803A2
	v_mov_b32_e32 v5, v4                                       // 00000000E420: 7E0A0304
	v_pk_mul_f32 v[132:133], v[4:5], v[132:133]                // 00000000E424: D3B14084 18030904
	v_pk_mul_f32 v[134:135], v[4:5], v[134:135]                // 00000000E42C: D3B14086 18030D04
	v_cvt_pk_fp8_f32 v132, v132, v133                          // 00000000E434: D2A20084 00030B84
	v_cvt_pk_fp8_f32 v132, v134, v135 op_sel:[0,0,1]           // 00000000E43C: D2A24084 00030F86
	v_pk_mul_f32 v[144:145], v[4:5], v[144:145]                // 00000000E444: D3B14090 18032104
	v_pk_mul_f32 v[146:147], v[4:5], v[146:147]                // 00000000E44C: D3B14092 18032504
	v_cvt_pk_fp8_f32 v144, v144, v145                          // 00000000E454: D2A20090 00032390
	v_cvt_pk_fp8_f32 v144, v146, v147 op_sel:[0,0,1]           // 00000000E45C: D2A24090 00032792
	v_rcp_f32_e32 v162, v162                                   // 00000000E464: 7F4445A2
	v_mov_b32_e32 v154, 0x358637bd                             // 00000000E468: 7F3402FF 358637BD
	v_max3_f32 v154, |v64|, |v65|, v154                        // 00000000E470: D1D3039A 066A8340
	v_max3_f32 v154, |v66|, |v67|, v154                        // 00000000E478: D1D3039A 066A8742
	v_max3_f32 v154, |v76|, |v77|, v154                        // 00000000E480: D1D3039A 066A9B4C
	v_max3_f32 v154, |v78|, |v79|, v154                        // 00000000E488: D1D3039A 066A9F4E
	ds_write_b32 v164, v154                                    // 00000000E490: D81A0000 00009AA4
	s_waitcnt lgkmcnt(0)                                       // 00000000E498: BF8CC07F
	s_barrier                                                  // 00000000E49C: BF8A0000
	ds_read_b32 v4, v165                                       // 00000000E4A0: D86C0000 040000A5
	ds_read_b32 v5, v165 offset:64                             // 00000000E4A8: D86C0040 050000A5
	ds_read_b32 v6, v165 offset:128                            // 00000000E4B0: D86C0080 060000A5
	ds_read_b32 v7, v165 offset:192                            // 00000000E4B8: D86C00C0 070000A5
	ds_read_b32 v8, v165 offset:256                            // 00000000E4C0: D86C0100 080000A5
	ds_read_b32 v9, v165 offset:320                            // 00000000E4C8: D86C0140 090000A5
	ds_read_b32 v10, v165 offset:384                           // 00000000E4D0: D86C0180 0A0000A5
	ds_read_b32 v11, v165 offset:448                           // 00000000E4D8: D86C01C0 0B0000A5
	ds_read_b32 v12, v165 offset:512                           // 00000000E4E0: D86C0200 0C0000A5
	ds_read_b32 v13, v165 offset:576                           // 00000000E4E8: D86C0240 0D0000A5
	ds_read_b32 v14, v165 offset:640                           // 00000000E4F0: D86C0280 0E0000A5
	ds_read_b32 v15, v165 offset:704                           // 00000000E4F8: D86C02C0 0F0000A5
	ds_read_b32 v16, v165 offset:768                           // 00000000E500: D86C0300 100000A5
	ds_read_b32 v17, v165 offset:832                           // 00000000E508: D86C0340 110000A5
	ds_read_b32 v18, v165 offset:896                           // 00000000E510: D86C0380 120000A5
	ds_read_b32 v19, v165 offset:960                           // 00000000E518: D86C03C0 130000A5
	s_waitcnt lgkmcnt(0)                                       // 00000000E520: BF8CC07F
	s_barrier                                                  // 00000000E524: BF8A0000
	v_max3_f32 v154, |v4|, |v5|, v154                          // 00000000E528: D1D3039A 066A0B04
	v_max3_f32 v154, |v6|, |v7|, v154                          // 00000000E530: D1D3039A 066A0F06
	v_max3_f32 v154, |v8|, |v9|, v154                          // 00000000E538: D1D3039A 066A1308
	v_max3_f32 v154, |v10|, |v11|, v154                        // 00000000E540: D1D3039A 066A170A
	v_max3_f32 v154, |v12|, |v13|, v154                        // 00000000E548: D1D3039A 066A1B0C
	v_max3_f32 v154, |v14|, |v15|, v154                        // 00000000E550: D1D3039A 066A1F0E
	v_max3_f32 v154, |v16|, |v17|, v154                        // 00000000E558: D1D3039A 066A2310
	v_max3_f32 v154, |v18|, |v19|, v154                        // 00000000E560: D1D3039A 066A2712
	v_rcp_f32_e32 v154, v154                                   // 00000000E568: 7F34459A
	v_mov_b32_e32 v4, 0x43700000                               // 00000000E56C: 7E0802FF 43700000
	v_mul_f32_e32 v154, v4, v154                               // 00000000E574: 0B353504
	v_mov_b32_e32 v4, v154                                     // 00000000E578: 7E08039A
	v_mov_b32_e32 v5, v4                                       // 00000000E57C: 7E0A0304
	v_pk_mul_f32 v[64:65], v[4:5], v[64:65]                    // 00000000E580: D3B14040 18028104
	v_pk_mul_f32 v[66:67], v[4:5], v[66:67]                    // 00000000E588: D3B14042 18028504
	v_cvt_pk_fp8_f32 v64, v64, v65                             // 00000000E590: D2A20040 00028340
	v_cvt_pk_fp8_f32 v64, v66, v67 op_sel:[0,0,1]              // 00000000E598: D2A24040 00028742
	v_pk_mul_f32 v[76:77], v[4:5], v[76:77]                    // 00000000E5A0: D3B1404C 18029904
	v_pk_mul_f32 v[78:79], v[4:5], v[78:79]                    // 00000000E5A8: D3B1404E 18029D04
	v_cvt_pk_fp8_f32 v76, v76, v77                             // 00000000E5B0: D2A2004C 00029B4C
	v_cvt_pk_fp8_f32 v76, v78, v79 op_sel:[0,0,1]              // 00000000E5B8: D2A2404C 00029F4E
	v_rcp_f32_e32 v154, v154                                   // 00000000E5C0: 7F34459A
	v_mov_b32_e32 v157, 0x358637bd                             // 00000000E5C4: 7F3A02FF 358637BD
	v_max3_f32 v157, |v88|, |v89|, v157                        // 00000000E5CC: D1D3039D 0676B358
	v_max3_f32 v157, |v90|, |v91|, v157                        // 00000000E5D4: D1D3039D 0676B75A
	v_max3_f32 v157, |v100|, |v101|, v157                      // 00000000E5DC: D1D3039D 0676CB64
	v_max3_f32 v157, |v102|, |v103|, v157                      // 00000000E5E4: D1D3039D 0676CF66
	ds_write_b32 v164, v157                                    // 00000000E5EC: D81A0000 00009DA4
	s_waitcnt lgkmcnt(0)                                       // 00000000E5F4: BF8CC07F
	s_barrier                                                  // 00000000E5F8: BF8A0000
	ds_read_b32 v4, v165                                       // 00000000E5FC: D86C0000 040000A5
	ds_read_b32 v5, v165 offset:64                             // 00000000E604: D86C0040 050000A5
	ds_read_b32 v6, v165 offset:128                            // 00000000E60C: D86C0080 060000A5
	ds_read_b32 v7, v165 offset:192                            // 00000000E614: D86C00C0 070000A5
	ds_read_b32 v8, v165 offset:256                            // 00000000E61C: D86C0100 080000A5
	ds_read_b32 v9, v165 offset:320                            // 00000000E624: D86C0140 090000A5
	ds_read_b32 v10, v165 offset:384                           // 00000000E62C: D86C0180 0A0000A5
	ds_read_b32 v11, v165 offset:448                           // 00000000E634: D86C01C0 0B0000A5
	ds_read_b32 v12, v165 offset:512                           // 00000000E63C: D86C0200 0C0000A5
	ds_read_b32 v13, v165 offset:576                           // 00000000E644: D86C0240 0D0000A5
	ds_read_b32 v14, v165 offset:640                           // 00000000E64C: D86C0280 0E0000A5
	ds_read_b32 v15, v165 offset:704                           // 00000000E654: D86C02C0 0F0000A5
	ds_read_b32 v16, v165 offset:768                           // 00000000E65C: D86C0300 100000A5
	ds_read_b32 v17, v165 offset:832                           // 00000000E664: D86C0340 110000A5
	ds_read_b32 v18, v165 offset:896                           // 00000000E66C: D86C0380 120000A5
	ds_read_b32 v19, v165 offset:960                           // 00000000E674: D86C03C0 130000A5
	s_waitcnt lgkmcnt(0)                                       // 00000000E67C: BF8CC07F
	s_barrier                                                  // 00000000E680: BF8A0000
	v_max3_f32 v157, |v4|, |v5|, v157                          // 00000000E684: D1D3039D 06760B04
	v_max3_f32 v157, |v6|, |v7|, v157                          // 00000000E68C: D1D3039D 06760F06
	v_max3_f32 v157, |v8|, |v9|, v157                          // 00000000E694: D1D3039D 06761308
	v_max3_f32 v157, |v10|, |v11|, v157                        // 00000000E69C: D1D3039D 0676170A
	v_max3_f32 v157, |v12|, |v13|, v157                        // 00000000E6A4: D1D3039D 06761B0C
	v_max3_f32 v157, |v14|, |v15|, v157                        // 00000000E6AC: D1D3039D 06761F0E
	v_max3_f32 v157, |v16|, |v17|, v157                        // 00000000E6B4: D1D3039D 06762310
	v_max3_f32 v157, |v18|, |v19|, v157                        // 00000000E6BC: D1D3039D 06762712
	v_rcp_f32_e32 v157, v157                                   // 00000000E6C4: 7F3A459D
	v_mov_b32_e32 v4, 0x43700000                               // 00000000E6C8: 7E0802FF 43700000
	v_mul_f32_e32 v157, v4, v157                               // 00000000E6D0: 0B3B3B04
	v_mov_b32_e32 v4, v157                                     // 00000000E6D4: 7E08039D
	v_mov_b32_e32 v5, v4                                       // 00000000E6D8: 7E0A0304
	v_pk_mul_f32 v[88:89], v[4:5], v[88:89]                    // 00000000E6DC: D3B14058 1802B104
	v_pk_mul_f32 v[90:91], v[4:5], v[90:91]                    // 00000000E6E4: D3B1405A 1802B504
	v_cvt_pk_fp8_f32 v88, v88, v89                             // 00000000E6EC: D2A20058 0002B358
	v_cvt_pk_fp8_f32 v88, v90, v91 op_sel:[0,0,1]              // 00000000E6F4: D2A24058 0002B75A
	v_pk_mul_f32 v[100:101], v[4:5], v[100:101]                // 00000000E6FC: D3B14064 1802C904
	v_pk_mul_f32 v[102:103], v[4:5], v[102:103]                // 00000000E704: D3B14066 1802CD04
	v_cvt_pk_fp8_f32 v100, v100, v101                          // 00000000E70C: D2A20064 0002CB64
	v_cvt_pk_fp8_f32 v100, v102, v103 op_sel:[0,0,1]           // 00000000E714: D2A24064 0002CF66
	v_rcp_f32_e32 v157, v157                                   // 00000000E71C: 7F3A459D
	v_mov_b32_e32 v160, 0x358637bd                             // 00000000E720: 7F4002FF 358637BD
	v_max3_f32 v160, |v112|, |v113|, v160                      // 00000000E728: D1D303A0 0682E370
	v_max3_f32 v160, |v114|, |v115|, v160                      // 00000000E730: D1D303A0 0682E772
	v_max3_f32 v160, |v124|, |v125|, v160                      // 00000000E738: D1D303A0 0682FB7C
	v_max3_f32 v160, |v126|, |v127|, v160                      // 00000000E740: D1D303A0 0682FF7E
	ds_write_b32 v164, v160                                    // 00000000E748: D81A0000 0000A0A4
	s_waitcnt lgkmcnt(0)                                       // 00000000E750: BF8CC07F
	s_barrier                                                  // 00000000E754: BF8A0000
	ds_read_b32 v4, v165                                       // 00000000E758: D86C0000 040000A5
	ds_read_b32 v5, v165 offset:64                             // 00000000E760: D86C0040 050000A5
	ds_read_b32 v6, v165 offset:128                            // 00000000E768: D86C0080 060000A5
	ds_read_b32 v7, v165 offset:192                            // 00000000E770: D86C00C0 070000A5
	ds_read_b32 v8, v165 offset:256                            // 00000000E778: D86C0100 080000A5
	ds_read_b32 v9, v165 offset:320                            // 00000000E780: D86C0140 090000A5
	ds_read_b32 v10, v165 offset:384                           // 00000000E788: D86C0180 0A0000A5
	ds_read_b32 v11, v165 offset:448                           // 00000000E790: D86C01C0 0B0000A5
	ds_read_b32 v12, v165 offset:512                           // 00000000E798: D86C0200 0C0000A5
	ds_read_b32 v13, v165 offset:576                           // 00000000E7A0: D86C0240 0D0000A5
	ds_read_b32 v14, v165 offset:640                           // 00000000E7A8: D86C0280 0E0000A5
	ds_read_b32 v15, v165 offset:704                           // 00000000E7B0: D86C02C0 0F0000A5
	ds_read_b32 v16, v165 offset:768                           // 00000000E7B8: D86C0300 100000A5
	ds_read_b32 v17, v165 offset:832                           // 00000000E7C0: D86C0340 110000A5
	ds_read_b32 v18, v165 offset:896                           // 00000000E7C8: D86C0380 120000A5
	ds_read_b32 v19, v165 offset:960                           // 00000000E7D0: D86C03C0 130000A5
	s_waitcnt lgkmcnt(0)                                       // 00000000E7D8: BF8CC07F
	s_barrier                                                  // 00000000E7DC: BF8A0000
	v_max3_f32 v160, |v4|, |v5|, v160                          // 00000000E7E0: D1D303A0 06820B04
	v_max3_f32 v160, |v6|, |v7|, v160                          // 00000000E7E8: D1D303A0 06820F06
	v_max3_f32 v160, |v8|, |v9|, v160                          // 00000000E7F0: D1D303A0 06821308
	v_max3_f32 v160, |v10|, |v11|, v160                        // 00000000E7F8: D1D303A0 0682170A
	v_max3_f32 v160, |v12|, |v13|, v160                        // 00000000E800: D1D303A0 06821B0C
	v_max3_f32 v160, |v14|, |v15|, v160                        // 00000000E808: D1D303A0 06821F0E
	v_max3_f32 v160, |v16|, |v17|, v160                        // 00000000E810: D1D303A0 06822310
	v_max3_f32 v160, |v18|, |v19|, v160                        // 00000000E818: D1D303A0 06822712
	v_rcp_f32_e32 v160, v160                                   // 00000000E820: 7F4045A0
	v_mov_b32_e32 v4, 0x43700000                               // 00000000E824: 7E0802FF 43700000
	v_mul_f32_e32 v160, v4, v160                               // 00000000E82C: 0B414104
	v_mov_b32_e32 v4, v160                                     // 00000000E830: 7E0803A0
	v_mov_b32_e32 v5, v4                                       // 00000000E834: 7E0A0304
	v_pk_mul_f32 v[112:113], v[4:5], v[112:113]                // 00000000E838: D3B14070 1802E104
	v_pk_mul_f32 v[114:115], v[4:5], v[114:115]                // 00000000E840: D3B14072 1802E504
	v_cvt_pk_fp8_f32 v112, v112, v113                          // 00000000E848: D2A20070 0002E370
	v_cvt_pk_fp8_f32 v112, v114, v115 op_sel:[0,0,1]           // 00000000E850: D2A24070 0002E772
	v_pk_mul_f32 v[124:125], v[4:5], v[124:125]                // 00000000E858: D3B1407C 1802F904
	v_pk_mul_f32 v[126:127], v[4:5], v[126:127]                // 00000000E860: D3B1407E 1802FD04
	v_cvt_pk_fp8_f32 v124, v124, v125                          // 00000000E868: D2A2007C 0002FB7C
	v_cvt_pk_fp8_f32 v124, v126, v127 op_sel:[0,0,1]           // 00000000E870: D2A2407C 0002FF7E
	v_rcp_f32_e32 v160, v160                                   // 00000000E878: 7F4045A0
	v_mov_b32_e32 v163, 0x358637bd                             // 00000000E87C: 7F4602FF 358637BD
	v_max3_f32 v163, |v136|, |v137|, v163                      // 00000000E884: D1D303A3 068F1388
	v_max3_f32 v163, |v138|, |v139|, v163                      // 00000000E88C: D1D303A3 068F178A
	v_max3_f32 v163, |v148|, |v149|, v163                      // 00000000E894: D1D303A3 068F2B94
	v_max3_f32 v163, |v150|, |v151|, v163                      // 00000000E89C: D1D303A3 068F2F96
	ds_write_b32 v164, v163                                    // 00000000E8A4: D81A0000 0000A3A4
	s_waitcnt lgkmcnt(0)                                       // 00000000E8AC: BF8CC07F
	s_barrier                                                  // 00000000E8B0: BF8A0000
	ds_read_b32 v4, v165                                       // 00000000E8B4: D86C0000 040000A5
	ds_read_b32 v5, v165 offset:64                             // 00000000E8BC: D86C0040 050000A5
	ds_read_b32 v6, v165 offset:128                            // 00000000E8C4: D86C0080 060000A5
	ds_read_b32 v7, v165 offset:192                            // 00000000E8CC: D86C00C0 070000A5
	ds_read_b32 v8, v165 offset:256                            // 00000000E8D4: D86C0100 080000A5
	ds_read_b32 v9, v165 offset:320                            // 00000000E8DC: D86C0140 090000A5
	ds_read_b32 v10, v165 offset:384                           // 00000000E8E4: D86C0180 0A0000A5
	ds_read_b32 v11, v165 offset:448                           // 00000000E8EC: D86C01C0 0B0000A5
	ds_read_b32 v12, v165 offset:512                           // 00000000E8F4: D86C0200 0C0000A5
	ds_read_b32 v13, v165 offset:576                           // 00000000E8FC: D86C0240 0D0000A5
	ds_read_b32 v14, v165 offset:640                           // 00000000E904: D86C0280 0E0000A5
	ds_read_b32 v15, v165 offset:704                           // 00000000E90C: D86C02C0 0F0000A5
	ds_read_b32 v16, v165 offset:768                           // 00000000E914: D86C0300 100000A5
	ds_read_b32 v17, v165 offset:832                           // 00000000E91C: D86C0340 110000A5
	ds_read_b32 v18, v165 offset:896                           // 00000000E924: D86C0380 120000A5
	ds_read_b32 v19, v165 offset:960                           // 00000000E92C: D86C03C0 130000A5
	s_waitcnt lgkmcnt(0)                                       // 00000000E934: BF8CC07F
	s_barrier                                                  // 00000000E938: BF8A0000
	v_max3_f32 v163, |v4|, |v5|, v163                          // 00000000E93C: D1D303A3 068E0B04
	v_max3_f32 v163, |v6|, |v7|, v163                          // 00000000E944: D1D303A3 068E0F06
	v_max3_f32 v163, |v8|, |v9|, v163                          // 00000000E94C: D1D303A3 068E1308
	v_max3_f32 v163, |v10|, |v11|, v163                        // 00000000E954: D1D303A3 068E170A
	v_max3_f32 v163, |v12|, |v13|, v163                        // 00000000E95C: D1D303A3 068E1B0C
	v_max3_f32 v163, |v14|, |v15|, v163                        // 00000000E964: D1D303A3 068E1F0E
	v_max3_f32 v163, |v16|, |v17|, v163                        // 00000000E96C: D1D303A3 068E2310
	v_max3_f32 v163, |v18|, |v19|, v163                        // 00000000E974: D1D303A3 068E2712
	v_rcp_f32_e32 v163, v163                                   // 00000000E97C: 7F4645A3
	v_mov_b32_e32 v4, 0x43700000                               // 00000000E980: 7E0802FF 43700000
	v_mul_f32_e32 v163, v4, v163                               // 00000000E988: 0B474704
	v_mov_b32_e32 v4, v163                                     // 00000000E98C: 7E0803A3
	v_mov_b32_e32 v5, v4                                       // 00000000E990: 7E0A0304
	v_pk_mul_f32 v[136:137], v[4:5], v[136:137]                // 00000000E994: D3B14088 18031104
	v_pk_mul_f32 v[138:139], v[4:5], v[138:139]                // 00000000E99C: D3B1408A 18031504
	v_cvt_pk_fp8_f32 v136, v136, v137                          // 00000000E9A4: D2A20088 00031388
	v_cvt_pk_fp8_f32 v136, v138, v139 op_sel:[0,0,1]           // 00000000E9AC: D2A24088 0003178A
	v_pk_mul_f32 v[148:149], v[4:5], v[148:149]                // 00000000E9B4: D3B14094 18032904
	v_pk_mul_f32 v[150:151], v[4:5], v[150:151]                // 00000000E9BC: D3B14096 18032D04
	v_cvt_pk_fp8_f32 v148, v148, v149                          // 00000000E9C4: D2A20094 00032B94
	v_cvt_pk_fp8_f32 v148, v150, v151 op_sel:[0,0,1]           // 00000000E9CC: D2A24094 00032F96
	v_rcp_f32_e32 v163, v163                                   // 00000000E9D4: 7F4645A3
	v_lshrrev_b32_e32 v4, 5, v0                                // 00000000E9D8: 20080085
	v_mul_lo_u32 v20, 34, v4                                   // 00000000E9DC: D2850014 000208A2
	v_and_b32_e32 v4, 31, v0                                   // 00000000E9E4: 2608009F
	v_lshrrev_b32_e32 v5, 4, v4                                // 00000000E9E8: 200A0884
	v_add_u32_e32 v20, v5, v20                                 // 00000000E9EC: 68282905
	v_and_b32_e32 v4, 15, v0                                   // 00000000E9F0: 2608008F
	v_mul_lo_u32 v5, 2, v4                                     // 00000000E9F4: D2850005 00020882
	v_add_u32_e32 v20, v5, v20                                 // 00000000E9FC: 68282905
	s_mul_i32 s60, s7, 0x44                                    // 00000000EA00: 923CFF07 00000044
	v_add_u32_e32 v20, s60, v20                                // 00000000EA08: 6828283C
	v_lshlrev_b32_e32 v20, 2, v20                              // 00000000EA0C: 24282882
	ds_write_b32 v20, v56                                      // 00000000EA10: D81A0000 00003814
	ds_write_b32 v20, v60 offset:8704                          // 00000000EA18: D81A2200 00003C14
	ds_write_b32 v20, v64 offset:17408                         // 00000000EA20: D81A4400 00004014
	ds_write_b32 v20, v68 offset:1088                          // 00000000EA28: D81A0440 00004414
	ds_write_b32 v20, v72 offset:9792                          // 00000000EA30: D81A2640 00004814
	ds_write_b32 v20, v76 offset:18496                         // 00000000EA38: D81A4840 00004C14
	ds_write_b32 v20, v80 offset:2176                          // 00000000EA40: D81A0880 00005014
	ds_write_b32 v20, v84 offset:10880                         // 00000000EA48: D81A2A80 00005414
	ds_write_b32 v20, v88 offset:19584                         // 00000000EA50: D81A4C80 00005814
	ds_write_b32 v20, v92 offset:3264                          // 00000000EA58: D81A0CC0 00005C14
	ds_write_b32 v20, v96 offset:11968                         // 00000000EA60: D81A2EC0 00006014
	ds_write_b32 v20, v100 offset:20672                        // 00000000EA68: D81A50C0 00006414
	ds_write_b32 v20, v104 offset:4352                         // 00000000EA70: D81A1100 00006814
	ds_write_b32 v20, v108 offset:13056                        // 00000000EA78: D81A3300 00006C14
	ds_write_b32 v20, v112 offset:21760                        // 00000000EA80: D81A5500 00007014
	ds_write_b32 v20, v116 offset:5440                         // 00000000EA88: D81A1540 00007414
	ds_write_b32 v20, v120 offset:14144                        // 00000000EA90: D81A3740 00007814
	ds_write_b32 v20, v124 offset:22848                        // 00000000EA98: D81A5940 00007C14
	ds_write_b32 v20, v128 offset:6528                         // 00000000EAA0: D81A1980 00008014
	ds_write_b32 v20, v132 offset:15232                        // 00000000EAA8: D81A3B80 00008414
	ds_write_b32 v20, v136 offset:23936                        // 00000000EAB0: D81A5D80 00008814
	ds_write_b32 v20, v140 offset:7616                         // 00000000EAB8: D81A1DC0 00008C14
	ds_write_b32 v20, v144 offset:16320                        // 00000000EAC0: D81A3FC0 00009014
	ds_write_b32 v20, v148 offset:25024                        // 00000000EAC8: D81A61C0 00009414
	v_lshrrev_b32_e32 v4, 5, v0                                // 00000000EAD0: 20080085
	v_xor_b32_e32 v5, 1, v4                                    // 00000000EAD4: 2A0A0881
	s_mul_i32 s60, s65, 1                                      // 00000000EAD8: 923C8141
	s_cmp_eq_u32 s88, 0                                        // 00000000EADC: BF068058
	s_cselect_b32 s61, 1, 8                                    // 00000000EAE0: 853D8881
	s_mul_i32 s60, s61, s60                                    // 00000000EAE4: 923C3C3D
	v_readlane_b32 s82, v3, 0                                  // 00000000EAE8: D2890052 00010103
	s_lshr_b32 s61, s82, 24                                    // 00000000EAF0: 8F3D9852
	s_and_b32 s82, s82, 0xffffff                               // 00000000EAF4: 8652FF52 00FFFFFF
	s_mul_i32 s82, s82, s71                                    // 00000000EAFC: 92524752
	s_mul_i32 s61, s60, s61                                    // 00000000EB00: 923D3D3C
	s_add_u32 s82, s82, s61                                    // 00000000EB04: 80523D52
	v_mul_lo_u32 v6, v5, s82                                   // 00000000EB08: D2850006 0000A505
	v_readlane_b32 s82, v3, 1                                  // 00000000EB10: D2890052 00010303
	s_lshr_b32 s61, s82, 24                                    // 00000000EB18: 8F3D9852
	s_and_b32 s82, s82, 0xffffff                               // 00000000EB1C: 8652FF52 00FFFFFF
	s_mul_i32 s82, s82, s71                                    // 00000000EB24: 92524752
	s_mul_i32 s61, s60, s61                                    // 00000000EB28: 923D3D3C
	s_add_u32 s82, s82, s61                                    // 00000000EB2C: 80523D52
	v_mul_lo_u32 v7, v4, s82                                   // 00000000EB30: D2850007 0000A504
	v_add_u32_e32 v40, v6, v7                                  // 00000000EB38: 68500F06
	v_readlane_b32 s82, v3, 2                                  // 00000000EB3C: D2890052 00010503
	s_lshr_b32 s61, s82, 24                                    // 00000000EB44: 8F3D9852
	s_and_b32 s82, s82, 0xffffff                               // 00000000EB48: 8652FF52 00FFFFFF
	s_mul_i32 s82, s82, s71                                    // 00000000EB50: 92524752
	s_mul_i32 s61, s60, s61                                    // 00000000EB54: 923D3D3C
	s_add_u32 s82, s82, s61                                    // 00000000EB58: 80523D52
	v_mul_lo_u32 v6, v5, s82                                   // 00000000EB5C: D2850006 0000A505
	v_readlane_b32 s82, v3, 3                                  // 00000000EB64: D2890052 00010703
	s_lshr_b32 s61, s82, 24                                    // 00000000EB6C: 8F3D9852
	s_and_b32 s82, s82, 0xffffff                               // 00000000EB70: 8652FF52 00FFFFFF
	s_mul_i32 s82, s82, s71                                    // 00000000EB78: 92524752
	s_mul_i32 s61, s60, s61                                    // 00000000EB7C: 923D3D3C
	s_add_u32 s82, s82, s61                                    // 00000000EB80: 80523D52
	v_mul_lo_u32 v7, v4, s82                                   // 00000000EB84: D2850007 0000A504
	v_add_u32_e32 v41, v6, v7                                  // 00000000EB8C: 68520F06
	v_readlane_b32 s82, v3, 4                                  // 00000000EB90: D2890052 00010903
	s_lshr_b32 s61, s82, 24                                    // 00000000EB98: 8F3D9852
	s_and_b32 s82, s82, 0xffffff                               // 00000000EB9C: 8652FF52 00FFFFFF
	s_mul_i32 s82, s82, s71                                    // 00000000EBA4: 92524752
	s_mul_i32 s61, s60, s61                                    // 00000000EBA8: 923D3D3C
	s_add_u32 s82, s82, s61                                    // 00000000EBAC: 80523D52
	v_mul_lo_u32 v6, v5, s82                                   // 00000000EBB0: D2850006 0000A505
	v_readlane_b32 s82, v3, 5                                  // 00000000EBB8: D2890052 00010B03
	s_lshr_b32 s61, s82, 24                                    // 00000000EBC0: 8F3D9852
	s_and_b32 s82, s82, 0xffffff                               // 00000000EBC4: 8652FF52 00FFFFFF
	s_mul_i32 s82, s82, s71                                    // 00000000EBCC: 92524752
	s_mul_i32 s61, s60, s61                                    // 00000000EBD0: 923D3D3C
	s_add_u32 s82, s82, s61                                    // 00000000EBD4: 80523D52
	v_mul_lo_u32 v7, v4, s82                                   // 00000000EBD8: D2850007 0000A504
	v_add_u32_e32 v42, v6, v7                                  // 00000000EBE0: 68540F06
	v_readlane_b32 s82, v3, 6                                  // 00000000EBE4: D2890052 00010D03
	s_lshr_b32 s61, s82, 24                                    // 00000000EBEC: 8F3D9852
	s_and_b32 s82, s82, 0xffffff                               // 00000000EBF0: 8652FF52 00FFFFFF
	s_mul_i32 s82, s82, s71                                    // 00000000EBF8: 92524752
	s_mul_i32 s61, s60, s61                                    // 00000000EBFC: 923D3D3C
	s_add_u32 s82, s82, s61                                    // 00000000EC00: 80523D52
	v_mul_lo_u32 v6, v5, s82                                   // 00000000EC04: D2850006 0000A505
	v_readlane_b32 s82, v3, 7                                  // 00000000EC0C: D2890052 00010F03
	s_lshr_b32 s61, s82, 24                                    // 00000000EC14: 8F3D9852
	s_and_b32 s82, s82, 0xffffff                               // 00000000EC18: 8652FF52 00FFFFFF
	s_mul_i32 s82, s82, s71                                    // 00000000EC20: 92524752
	s_mul_i32 s61, s60, s61                                    // 00000000EC24: 923D3D3C
	s_add_u32 s82, s82, s61                                    // 00000000EC28: 80523D52
	v_mul_lo_u32 v7, v4, s82                                   // 00000000EC2C: D2850007 0000A504
	v_add_u32_e32 v43, v6, v7                                  // 00000000EC34: 68560F06
	v_readlane_b32 s82, v3, 8                                  // 00000000EC38: D2890052 00011103
	s_lshr_b32 s61, s82, 24                                    // 00000000EC40: 8F3D9852
	s_and_b32 s82, s82, 0xffffff                               // 00000000EC44: 8652FF52 00FFFFFF
	s_mul_i32 s82, s82, s71                                    // 00000000EC4C: 92524752
	s_mul_i32 s61, s60, s61                                    // 00000000EC50: 923D3D3C
	s_add_u32 s82, s82, s61                                    // 00000000EC54: 80523D52
	v_mul_lo_u32 v6, v5, s82                                   // 00000000EC58: D2850006 0000A505
	v_readlane_b32 s82, v3, 9                                  // 00000000EC60: D2890052 00011303
	s_lshr_b32 s61, s82, 24                                    // 00000000EC68: 8F3D9852
	s_and_b32 s82, s82, 0xffffff                               // 00000000EC6C: 8652FF52 00FFFFFF
	s_mul_i32 s82, s82, s71                                    // 00000000EC74: 92524752
	s_mul_i32 s61, s60, s61                                    // 00000000EC78: 923D3D3C
	s_add_u32 s82, s82, s61                                    // 00000000EC7C: 80523D52
	v_mul_lo_u32 v7, v4, s82                                   // 00000000EC80: D2850007 0000A504
	v_add_u32_e32 v44, v6, v7                                  // 00000000EC88: 68580F06
	v_readlane_b32 s82, v3, 10                                 // 00000000EC8C: D2890052 00011503
	s_lshr_b32 s61, s82, 24                                    // 00000000EC94: 8F3D9852
	s_and_b32 s82, s82, 0xffffff                               // 00000000EC98: 8652FF52 00FFFFFF
	s_mul_i32 s82, s82, s71                                    // 00000000ECA0: 92524752
	s_mul_i32 s61, s60, s61                                    // 00000000ECA4: 923D3D3C
	s_add_u32 s82, s82, s61                                    // 00000000ECA8: 80523D52
	v_mul_lo_u32 v6, v5, s82                                   // 00000000ECAC: D2850006 0000A505
	v_readlane_b32 s82, v3, 11                                 // 00000000ECB4: D2890052 00011703
	s_lshr_b32 s61, s82, 24                                    // 00000000ECBC: 8F3D9852
	s_and_b32 s82, s82, 0xffffff                               // 00000000ECC0: 8652FF52 00FFFFFF
	s_mul_i32 s82, s82, s71                                    // 00000000ECC8: 92524752
	s_mul_i32 s61, s60, s61                                    // 00000000ECCC: 923D3D3C
	s_add_u32 s82, s82, s61                                    // 00000000ECD0: 80523D52
	v_mul_lo_u32 v7, v4, s82                                   // 00000000ECD4: D2850007 0000A504
	v_add_u32_e32 v45, v6, v7                                  // 00000000ECDC: 685A0F06
	v_and_b32_e32 v4, 31, v0                                   // 00000000ECE0: 2608009F
	v_lshrrev_b32_e32 v4, 1, v4                                // 00000000ECE4: 20080881
	s_cmp_eq_u32 s88, 0                                        // 00000000ECE8: BF068058
	s_cselect_b32 s61, 2, 4                                    // 00000000ECEC: 853D8482
	v_mul_lo_u32 v4, v4, s61                                   // 00000000ECF0: D2850004 00007B04
	v_and_b32_e64 v5, v0, 1                                    // 00000000ECF8: D1130005 00010300
	v_add_u32_e32 v4, v4, v5                                   // 00000000ED00: 68080B04
	v_lshlrev_b32_e32 v4, 2, v4                                // 00000000ED04: 24080882
	v_add_u32_e32 v40, v40, v4                                 // 00000000ED08: 68500928
	v_add_u32_e32 v41, v41, v4                                 // 00000000ED0C: 68520929
	v_add_u32_e32 v42, v42, v4                                 // 00000000ED10: 6854092A
	v_add_u32_e32 v43, v43, v4                                 // 00000000ED14: 6856092B
	v_add_u32_e32 v44, v44, v4                                 // 00000000ED18: 6858092C
	v_add_u32_e32 v45, v45, v4                                 // 00000000ED1C: 685A092D
	s_waitcnt lgkmcnt(0)                                       // 00000000ED20: BF8CC07F
	s_barrier                                                  // 00000000ED24: BF8A0000
	ds_read_b32 v56, v21                                       // 00000000ED28: D86C0000 38000015
	ds_read_b32 v57, v21 offset:64                             // 00000000ED30: D86C0040 39000015
	ds_read_b32 v58, v21 offset:2176                           // 00000000ED38: D86C0880 3A000015
	ds_read_b32 v59, v21 offset:2240                           // 00000000ED40: D86C08C0 3B000015
	ds_read_b32 v60, v21 offset:4352                           // 00000000ED48: D86C1100 3C000015
	ds_read_b32 v61, v21 offset:4416                           // 00000000ED50: D86C1140 3D000015
	ds_read_b32 v62, v21 offset:6528                           // 00000000ED58: D86C1980 3E000015
	ds_read_b32 v63, v21 offset:6592                           // 00000000ED60: D86C19C0 3F000015
	ds_read_b32 v64, v21 offset:8704                           // 00000000ED68: D86C2200 40000015
	ds_read_b32 v65, v21 offset:8768                           // 00000000ED70: D86C2240 41000015
	ds_read_b32 v66, v21 offset:10880                          // 00000000ED78: D86C2A80 42000015
	ds_read_b32 v67, v21 offset:10944                          // 00000000ED80: D86C2AC0 43000015
	ds_read_b32 v68, v21 offset:13056                          // 00000000ED88: D86C3300 44000015
	ds_read_b32 v69, v21 offset:13120                          // 00000000ED90: D86C3340 45000015
	ds_read_b32 v70, v21 offset:15232                          // 00000000ED98: D86C3B80 46000015
	ds_read_b32 v71, v21 offset:15296                          // 00000000EDA0: D86C3BC0 47000015
	ds_read_b32 v72, v21 offset:17408                          // 00000000EDA8: D86C4400 48000015
	ds_read_b32 v73, v21 offset:17472                          // 00000000EDB0: D86C4440 49000015
	ds_read_b32 v74, v21 offset:19584                          // 00000000EDB8: D86C4C80 4A000015
	ds_read_b32 v75, v21 offset:19648                          // 00000000EDC0: D86C4CC0 4B000015
	ds_read_b32 v76, v21 offset:21760                          // 00000000EDC8: D86C5500 4C000015
	ds_read_b32 v77, v21 offset:21824                          // 00000000EDD0: D86C5540 4D000015
	ds_read_b32 v78, v21 offset:23936                          // 00000000EDD8: D86C5D80 4E000015
	ds_read_b32 v79, v21 offset:24000                          // 00000000EDE0: D86C5DC0 4F000015
	s_waitcnt lgkmcnt(0)                                       // 00000000EDE8: BF8CC07F
	s_mov_b32 s36, -1                                          // 00000000EDEC: BEA400C1
	s_mov_b32 s37, -1                                          // 00000000EDF0: BEA500C1
	v_mov_b32_e32 v7, 0                                        // 00000000EDF4: 7E0E0280
	s_or_b32 s9, s9, 0x40000                                   // 00000000EDF8: 8709FF09 00040000
	s_mov_b64 exec, s[36:37]                                   // 00000000EE00: BEFE0124
	v_mov_b32_e32 v6, v40                                      // 00000000EE04: 7E0C0328
	s_mov_b64 s[60:61], 0                                      // 00000000EE08: BEBC0180
	v_readlane_b32 s82, v3, 0                                  // 00000000EE0C: D2890052 00010103
	s_and_b32 s82, s82, 0xffffff                               // 00000000EE14: 8652FF52 00FFFFFF
	s_cmp_lt_u32 s82, s66                                      // 00000000EE1C: BF0A4252
	s_cselect_b32 s20, s36, s60                                // 00000000EE20: 85143C24
	v_readlane_b32 s82, v3, 1                                  // 00000000EE24: D2890052 00010303
	s_and_b32 s82, s82, 0xffffff                               // 00000000EE2C: 8652FF52 00FFFFFF
	s_cmp_lt_u32 s82, s66                                      // 00000000EE34: BF0A4252
	s_cselect_b32 s21, s36, s60                                // 00000000EE38: 85153C24
	s_mov_b64 exec, s[20:21]                                   // 00000000EE3C: BEFE0114
	buffer_store_dword v56, v6, s[8:11], 0 offen               // 00000000EE40: E0701000 80023806
	buffer_store_dword v58, v6, s[8:11], 0 offen offset:128    // 00000000EE48: E0701080 80023A06
	buffer_store_dword v60, v6, s[8:11], 0 offen offset:256    // 00000000EE50: E0701100 80023C06
	buffer_store_dword v62, v6, s[8:11], 0 offen offset:384    // 00000000EE58: E0701180 80023E06
	s_mov_b64 exec, s[36:37]                                   // 00000000EE60: BEFE0124
	v_mov_b32_e32 v6, v41                                      // 00000000EE64: 7E0C0329
	s_mov_b64 s[60:61], 0                                      // 00000000EE68: BEBC0180
	v_readlane_b32 s82, v3, 2                                  // 00000000EE6C: D2890052 00010503
	s_and_b32 s82, s82, 0xffffff                               // 00000000EE74: 8652FF52 00FFFFFF
	s_cmp_lt_u32 s82, s66                                      // 00000000EE7C: BF0A4252
	s_cselect_b32 s20, s36, s60                                // 00000000EE80: 85143C24
	v_readlane_b32 s82, v3, 3                                  // 00000000EE84: D2890052 00010703
	s_and_b32 s82, s82, 0xffffff                               // 00000000EE8C: 8652FF52 00FFFFFF
	s_cmp_lt_u32 s82, s66                                      // 00000000EE94: BF0A4252
	s_cselect_b32 s21, s36, s60                                // 00000000EE98: 85153C24
	s_mov_b64 exec, s[20:21]                                   // 00000000EE9C: BEFE0114
	buffer_store_dword v57, v6, s[8:11], 0 offen               // 00000000EEA0: E0701000 80023906
	buffer_store_dword v59, v6, s[8:11], 0 offen offset:128    // 00000000EEA8: E0701080 80023B06
	buffer_store_dword v61, v6, s[8:11], 0 offen offset:256    // 00000000EEB0: E0701100 80023D06
	buffer_store_dword v63, v6, s[8:11], 0 offen offset:384    // 00000000EEB8: E0701180 80023F06
	s_mov_b64 exec, s[36:37]                                   // 00000000EEC0: BEFE0124
	v_mov_b32_e32 v6, v42                                      // 00000000EEC4: 7E0C032A
	s_mov_b64 s[60:61], 0                                      // 00000000EEC8: BEBC0180
	v_readlane_b32 s82, v3, 4                                  // 00000000EECC: D2890052 00010903
	s_and_b32 s82, s82, 0xffffff                               // 00000000EED4: 8652FF52 00FFFFFF
	s_cmp_lt_u32 s82, s66                                      // 00000000EEDC: BF0A4252
	s_cselect_b32 s20, s36, s60                                // 00000000EEE0: 85143C24
	v_readlane_b32 s82, v3, 5                                  // 00000000EEE4: D2890052 00010B03
	s_and_b32 s82, s82, 0xffffff                               // 00000000EEEC: 8652FF52 00FFFFFF
	s_cmp_lt_u32 s82, s66                                      // 00000000EEF4: BF0A4252
	s_cselect_b32 s21, s36, s60                                // 00000000EEF8: 85153C24
	s_mov_b64 exec, s[20:21]                                   // 00000000EEFC: BEFE0114
	buffer_store_dword v64, v6, s[8:11], 0 offen               // 00000000EF00: E0701000 80024006
	buffer_store_dword v66, v6, s[8:11], 0 offen offset:128    // 00000000EF08: E0701080 80024206
	buffer_store_dword v68, v6, s[8:11], 0 offen offset:256    // 00000000EF10: E0701100 80024406
	buffer_store_dword v70, v6, s[8:11], 0 offen offset:384    // 00000000EF18: E0701180 80024606
	s_mov_b64 exec, s[36:37]                                   // 00000000EF20: BEFE0124
	v_mov_b32_e32 v6, v43                                      // 00000000EF24: 7E0C032B
	s_mov_b64 s[60:61], 0                                      // 00000000EF28: BEBC0180
	v_readlane_b32 s82, v3, 6                                  // 00000000EF2C: D2890052 00010D03
	s_and_b32 s82, s82, 0xffffff                               // 00000000EF34: 8652FF52 00FFFFFF
	s_cmp_lt_u32 s82, s66                                      // 00000000EF3C: BF0A4252
	s_cselect_b32 s20, s36, s60                                // 00000000EF40: 85143C24
	v_readlane_b32 s82, v3, 7                                  // 00000000EF44: D2890052 00010F03
	s_and_b32 s82, s82, 0xffffff                               // 00000000EF4C: 8652FF52 00FFFFFF
	s_cmp_lt_u32 s82, s66                                      // 00000000EF54: BF0A4252
	s_cselect_b32 s21, s36, s60                                // 00000000EF58: 85153C24
	s_mov_b64 exec, s[20:21]                                   // 00000000EF5C: BEFE0114
	buffer_store_dword v65, v6, s[8:11], 0 offen               // 00000000EF60: E0701000 80024106
	buffer_store_dword v67, v6, s[8:11], 0 offen offset:128    // 00000000EF68: E0701080 80024306
	buffer_store_dword v69, v6, s[8:11], 0 offen offset:256    // 00000000EF70: E0701100 80024506
	buffer_store_dword v71, v6, s[8:11], 0 offen offset:384    // 00000000EF78: E0701180 80024706
	s_mov_b64 exec, s[36:37]                                   // 00000000EF80: BEFE0124
	v_mov_b32_e32 v6, v44                                      // 00000000EF84: 7E0C032C
	s_mov_b64 s[60:61], 0                                      // 00000000EF88: BEBC0180
	v_readlane_b32 s82, v3, 8                                  // 00000000EF8C: D2890052 00011103
	s_and_b32 s82, s82, 0xffffff                               // 00000000EF94: 8652FF52 00FFFFFF
	s_cmp_lt_u32 s82, s66                                      // 00000000EF9C: BF0A4252
	s_cselect_b32 s20, s36, s60                                // 00000000EFA0: 85143C24
	v_readlane_b32 s82, v3, 9                                  // 00000000EFA4: D2890052 00011303
	s_and_b32 s82, s82, 0xffffff                               // 00000000EFAC: 8652FF52 00FFFFFF
	s_cmp_lt_u32 s82, s66                                      // 00000000EFB4: BF0A4252
	s_cselect_b32 s21, s36, s60                                // 00000000EFB8: 85153C24
	s_mov_b64 exec, s[20:21]                                   // 00000000EFBC: BEFE0114
	buffer_store_dword v72, v6, s[8:11], 0 offen               // 00000000EFC0: E0701000 80024806
	buffer_store_dword v74, v6, s[8:11], 0 offen offset:128    // 00000000EFC8: E0701080 80024A06
	buffer_store_dword v76, v6, s[8:11], 0 offen offset:256    // 00000000EFD0: E0701100 80024C06
	buffer_store_dword v78, v6, s[8:11], 0 offen offset:384    // 00000000EFD8: E0701180 80024E06
	s_mov_b64 exec, s[36:37]                                   // 00000000EFE0: BEFE0124
	v_mov_b32_e32 v6, v45                                      // 00000000EFE4: 7E0C032D
	s_mov_b64 s[60:61], 0                                      // 00000000EFE8: BEBC0180
	v_readlane_b32 s82, v3, 10                                 // 00000000EFEC: D2890052 00011503
	s_and_b32 s82, s82, 0xffffff                               // 00000000EFF4: 8652FF52 00FFFFFF
	s_cmp_lt_u32 s82, s66                                      // 00000000EFFC: BF0A4252
	s_cselect_b32 s20, s36, s60                                // 00000000F000: 85143C24
	v_readlane_b32 s82, v3, 11                                 // 00000000F004: D2890052 00011703
	s_and_b32 s82, s82, 0xffffff                               // 00000000F00C: 8652FF52 00FFFFFF
	s_cmp_lt_u32 s82, s66                                      // 00000000F014: BF0A4252
	s_cselect_b32 s21, s36, s60                                // 00000000F018: 85153C24
	s_mov_b64 exec, s[20:21]                                   // 00000000F01C: BEFE0114
	buffer_store_dword v73, v6, s[8:11], 0 offen               // 00000000F020: E0701000 80024906
	buffer_store_dword v75, v6, s[8:11], 0 offen offset:128    // 00000000F028: E0701080 80024B06
	buffer_store_dword v77, v6, s[8:11], 0 offen offset:256    // 00000000F030: E0701100 80024D06
	buffer_store_dword v79, v6, s[8:11], 0 offen offset:384    // 00000000F038: E0701180 80024F06
	s_mov_b64 exec, s[36:37]                                   // 00000000F040: BEFE0124
	s_cmp_eq_u32 s7, 0                                         // 00000000F044: BF068007
	s_cbranch_scc0 label_37C6                                  // 00000000F048: BF840630
	s_waitcnt vmcnt(24)                                        // 00000000F04C: BF8C4F78
	s_mov_b32 s8, s90                                          // 00000000F050: BE88005A
	s_mov_b32 s9, s91                                          // 00000000F054: BE89005B
	s_mul_i32 s60, s66, s71                                    // 00000000F058: 923C4742
	s_add_u32 s8, s60, s8                                      // 00000000F05C: 8008083C
	s_addc_u32 s9, 0, s9                                       // 00000000F060: 82090980
	s_lshr_b32 s71, s71, 5                                     // 00000000F064: 8F478547
	s_mul_i32 s60, s66, s71                                    // 00000000F068: 923C4742
	s_mov_b32 s10, s60                                         // 00000000F06C: BE8A003C
	s_lshr_b32 s61, s65, 5                                     // 00000000F070: 8F3D8541
	s_mul_i32 s60, s2, 16                                      // 00000000F074: 923C9002
	v_lshrrev_b32_e32 v4, 24, v28                              // 00000000F078: 20083898
	v_mul_lo_u32 v4, s61, v4                                   // 00000000F07C: D2850004 0002083D
	v_and_b32_e32 v28, 0xffffff, v28                           // 00000000F084: 263838FF 00FFFFFF
	v_mul_lo_u32 v28, s71, v28                                 // 00000000F08C: D285001C 00023847
	v_add_u32_e32 v28, v4, v28                                 // 00000000F094: 68383904
	v_add_u32_e32 v28, s60, v28                                // 00000000F098: 6838383C
	v_lshrrev_b32_e32 v4, 24, v29                              // 00000000F09C: 20083A98
	v_mul_lo_u32 v4, s61, v4                                   // 00000000F0A0: D2850004 0002083D
	v_and_b32_e32 v29, 0xffffff, v29                           // 00000000F0A8: 263A3AFF 00FFFFFF
	v_mul_lo_u32 v29, s71, v29                                 // 00000000F0B0: D285001D 00023A47
	v_add_u32_e32 v29, v4, v29                                 // 00000000F0B8: 683A3B04
	v_add_u32_e32 v29, s60, v29                                // 00000000F0BC: 683A3A3C
	v_lshrrev_b32_e32 v4, 24, v30                              // 00000000F0C0: 20083C98
	v_mul_lo_u32 v4, s61, v4                                   // 00000000F0C4: D2850004 0002083D
	v_and_b32_e32 v30, 0xffffff, v30                           // 00000000F0CC: 263C3CFF 00FFFFFF
	v_mul_lo_u32 v30, s71, v30                                 // 00000000F0D4: D285001E 00023C47
	v_add_u32_e32 v30, v4, v30                                 // 00000000F0DC: 683C3D04
	v_add_u32_e32 v30, s60, v30                                // 00000000F0E0: 683C3C3C
	s_mov_b64 exec, 0xffff                                     // 00000000F0E4: BEFE01FF 0000FFFF
	buffer_store_dword v152, v28, s[8:11], 0 offen             // 00000000F0EC: E0701000 8002981C
	buffer_store_dword v155, v28, s[8:11], 0 offen offset:4    // 00000000F0F4: E0701004 80029B1C
	buffer_store_dword v158, v28, s[8:11], 0 offen offset:8    // 00000000F0FC: E0701008 80029E1C
	buffer_store_dword v161, v28, s[8:11], 0 offen offset:12   // 00000000F104: E070100C 8002A11C
	buffer_store_dword v153, v29, s[8:11], 0 offen             // 00000000F10C: E0701000 8002991D
	buffer_store_dword v156, v29, s[8:11], 0 offen offset:4    // 00000000F114: E0701004 80029C1D
	buffer_store_dword v159, v29, s[8:11], 0 offen offset:8    // 00000000F11C: E0701008 80029F1D
	buffer_store_dword v162, v29, s[8:11], 0 offen offset:12   // 00000000F124: E070100C 8002A21D
	buffer_store_dword v154, v30, s[8:11], 0 offen             // 00000000F12C: E0701000 80029A1E
	buffer_store_dword v157, v30, s[8:11], 0 offen offset:4    // 00000000F134: E0701004 80029D1E
	buffer_store_dword v160, v30, s[8:11], 0 offen offset:8    // 00000000F13C: E0701008 8002A01E
	buffer_store_dword v163, v30, s[8:11], 0 offen offset:12   // 00000000F144: E070100C 8002A31E
	s_mov_b64 exec, s[36:37]                                   // 00000000F14C: BEFE0124
	s_branch label_37C6                                        // 00000000F150: BF8205EE

000000000000f154 <label_31D8>:
	ds_write_b64 v20, v[56:57]                                 // 00000000F154: D89A0000 00003814
	ds_write_b64 v20, v[60:61] offset:17408                    // 00000000F15C: D89A4400 00003C14
	ds_write_b64 v20, v[64:65] offset:34816                    // 00000000F164: D89A8800 00004014
	ds_write_b64 v20, v[68:69] offset:2176                     // 00000000F16C: D89A0880 00004414
	ds_write_b64 v20, v[72:73] offset:19584                    // 00000000F174: D89A4C80 00004814
	ds_write_b64 v20, v[76:77] offset:36992                    // 00000000F17C: D89A9080 00004C14
	ds_write_b64 v20, v[80:81] offset:4352                     // 00000000F184: D89A1100 00005014
	ds_write_b64 v20, v[84:85] offset:21760                    // 00000000F18C: D89A5500 00005414
	ds_write_b64 v20, v[88:89] offset:39168                    // 00000000F194: D89A9900 00005814
	ds_write_b64 v20, v[92:93] offset:6528                     // 00000000F19C: D89A1980 00005C14
	ds_write_b64 v20, v[96:97] offset:23936                    // 00000000F1A4: D89A5D80 00006014
	ds_write_b64 v20, v[100:101] offset:41344                  // 00000000F1AC: D89AA180 00006414
	ds_write_b64 v20, v[104:105] offset:8704                   // 00000000F1B4: D89A2200 00006814
	ds_write_b64 v20, v[108:109] offset:26112                  // 00000000F1BC: D89A6600 00006C14
	ds_write_b64 v20, v[112:113] offset:43520                  // 00000000F1C4: D89AAA00 00007014
	ds_write_b64 v20, v[116:117] offset:10880                  // 00000000F1CC: D89A2A80 00007414
	ds_write_b64 v20, v[120:121] offset:28288                  // 00000000F1D4: D89A6E80 00007814
	ds_write_b64 v20, v[124:125] offset:45696                  // 00000000F1DC: D89AB280 00007C14
	ds_write_b64 v20, v[128:129] offset:13056                  // 00000000F1E4: D89A3300 00008014
	ds_write_b64 v20, v[132:133] offset:30464                  // 00000000F1EC: D89A7700 00008414
	ds_write_b64 v20, v[136:137] offset:47872                  // 00000000F1F4: D89ABB00 00008814
	ds_write_b64 v20, v[140:141] offset:15232                  // 00000000F1FC: D89A3B80 00008C14
	ds_write_b64 v20, v[144:145] offset:32640                  // 00000000F204: D89A7F80 00009014
	ds_write_b64 v20, v[148:149] offset:50048                  // 00000000F20C: D89AC380 00009414
	v_lshrrev_b32_e32 v4, 5, v0                                // 00000000F214: 20080085
	v_xor_b32_e32 v5, 1, v4                                    // 00000000F218: 2A0A0881
	s_mul_i32 s60, s65, 1                                      // 00000000F21C: 923C8141
	s_cmp_eq_u32 s88, 0                                        // 00000000F220: BF068058
	s_cselect_b32 s61, 1, 8                                    // 00000000F224: 853D8881
	s_mul_i32 s60, s61, s60                                    // 00000000F228: 923C3C3D
	v_readlane_b32 s82, v3, 0                                  // 00000000F22C: D2890052 00010103
	s_lshr_b32 s61, s82, 24                                    // 00000000F234: 8F3D9852
	s_and_b32 s82, s82, 0xffffff                               // 00000000F238: 8652FF52 00FFFFFF
	s_mul_i32 s82, s82, s71                                    // 00000000F240: 92524752
	s_mul_i32 s61, s60, s61                                    // 00000000F244: 923D3D3C
	s_add_u32 s82, s82, s61                                    // 00000000F248: 80523D52
	v_mul_lo_u32 v6, v5, s82                                   // 00000000F24C: D2850006 0000A505
	v_readlane_b32 s82, v3, 1                                  // 00000000F254: D2890052 00010303
	s_lshr_b32 s61, s82, 24                                    // 00000000F25C: 8F3D9852
	s_and_b32 s82, s82, 0xffffff                               // 00000000F260: 8652FF52 00FFFFFF
	s_mul_i32 s82, s82, s71                                    // 00000000F268: 92524752
	s_mul_i32 s61, s60, s61                                    // 00000000F26C: 923D3D3C
	s_add_u32 s82, s82, s61                                    // 00000000F270: 80523D52
	v_mul_lo_u32 v7, v4, s82                                   // 00000000F274: D2850007 0000A504
	v_add_u32_e32 v40, v6, v7                                  // 00000000F27C: 68500F06
	v_readlane_b32 s82, v3, 2                                  // 00000000F280: D2890052 00010503
	s_lshr_b32 s61, s82, 24                                    // 00000000F288: 8F3D9852
	s_and_b32 s82, s82, 0xffffff                               // 00000000F28C: 8652FF52 00FFFFFF
	s_mul_i32 s82, s82, s71                                    // 00000000F294: 92524752
	s_mul_i32 s61, s60, s61                                    // 00000000F298: 923D3D3C
	s_add_u32 s82, s82, s61                                    // 00000000F29C: 80523D52
	v_mul_lo_u32 v6, v5, s82                                   // 00000000F2A0: D2850006 0000A505
	v_readlane_b32 s82, v3, 3                                  // 00000000F2A8: D2890052 00010703
	s_lshr_b32 s61, s82, 24                                    // 00000000F2B0: 8F3D9852
	s_and_b32 s82, s82, 0xffffff                               // 00000000F2B4: 8652FF52 00FFFFFF
	s_mul_i32 s82, s82, s71                                    // 00000000F2BC: 92524752
	s_mul_i32 s61, s60, s61                                    // 00000000F2C0: 923D3D3C
	s_add_u32 s82, s82, s61                                    // 00000000F2C4: 80523D52
	v_mul_lo_u32 v7, v4, s82                                   // 00000000F2C8: D2850007 0000A504
	v_add_u32_e32 v41, v6, v7                                  // 00000000F2D0: 68520F06
	v_readlane_b32 s82, v3, 4                                  // 00000000F2D4: D2890052 00010903
	s_lshr_b32 s61, s82, 24                                    // 00000000F2DC: 8F3D9852
	s_and_b32 s82, s82, 0xffffff                               // 00000000F2E0: 8652FF52 00FFFFFF
	s_mul_i32 s82, s82, s71                                    // 00000000F2E8: 92524752
	s_mul_i32 s61, s60, s61                                    // 00000000F2EC: 923D3D3C
	s_add_u32 s82, s82, s61                                    // 00000000F2F0: 80523D52
	v_mul_lo_u32 v6, v5, s82                                   // 00000000F2F4: D2850006 0000A505
	v_readlane_b32 s82, v3, 5                                  // 00000000F2FC: D2890052 00010B03
	s_lshr_b32 s61, s82, 24                                    // 00000000F304: 8F3D9852
	s_and_b32 s82, s82, 0xffffff                               // 00000000F308: 8652FF52 00FFFFFF
	s_mul_i32 s82, s82, s71                                    // 00000000F310: 92524752
	s_mul_i32 s61, s60, s61                                    // 00000000F314: 923D3D3C
	s_add_u32 s82, s82, s61                                    // 00000000F318: 80523D52
	v_mul_lo_u32 v7, v4, s82                                   // 00000000F31C: D2850007 0000A504
	v_add_u32_e32 v42, v6, v7                                  // 00000000F324: 68540F06
	v_readlane_b32 s82, v3, 6                                  // 00000000F328: D2890052 00010D03
	s_lshr_b32 s61, s82, 24                                    // 00000000F330: 8F3D9852
	s_and_b32 s82, s82, 0xffffff                               // 00000000F334: 8652FF52 00FFFFFF
	s_mul_i32 s82, s82, s71                                    // 00000000F33C: 92524752
	s_mul_i32 s61, s60, s61                                    // 00000000F340: 923D3D3C
	s_add_u32 s82, s82, s61                                    // 00000000F344: 80523D52
	v_mul_lo_u32 v6, v5, s82                                   // 00000000F348: D2850006 0000A505
	v_readlane_b32 s82, v3, 7                                  // 00000000F350: D2890052 00010F03
	s_lshr_b32 s61, s82, 24                                    // 00000000F358: 8F3D9852
	s_and_b32 s82, s82, 0xffffff                               // 00000000F35C: 8652FF52 00FFFFFF
	s_mul_i32 s82, s82, s71                                    // 00000000F364: 92524752
	s_mul_i32 s61, s60, s61                                    // 00000000F368: 923D3D3C
	s_add_u32 s82, s82, s61                                    // 00000000F36C: 80523D52
	v_mul_lo_u32 v7, v4, s82                                   // 00000000F370: D2850007 0000A504
	v_add_u32_e32 v43, v6, v7                                  // 00000000F378: 68560F06
	v_readlane_b32 s82, v3, 8                                  // 00000000F37C: D2890052 00011103
	s_lshr_b32 s61, s82, 24                                    // 00000000F384: 8F3D9852
	s_and_b32 s82, s82, 0xffffff                               // 00000000F388: 8652FF52 00FFFFFF
	s_mul_i32 s82, s82, s71                                    // 00000000F390: 92524752
	s_mul_i32 s61, s60, s61                                    // 00000000F394: 923D3D3C
	s_add_u32 s82, s82, s61                                    // 00000000F398: 80523D52
	v_mul_lo_u32 v6, v5, s82                                   // 00000000F39C: D2850006 0000A505
	v_readlane_b32 s82, v3, 9                                  // 00000000F3A4: D2890052 00011303
	s_lshr_b32 s61, s82, 24                                    // 00000000F3AC: 8F3D9852
	s_and_b32 s82, s82, 0xffffff                               // 00000000F3B0: 8652FF52 00FFFFFF
	s_mul_i32 s82, s82, s71                                    // 00000000F3B8: 92524752
	s_mul_i32 s61, s60, s61                                    // 00000000F3BC: 923D3D3C
	s_add_u32 s82, s82, s61                                    // 00000000F3C0: 80523D52
	v_mul_lo_u32 v7, v4, s82                                   // 00000000F3C4: D2850007 0000A504
	v_add_u32_e32 v44, v6, v7                                  // 00000000F3CC: 68580F06
	v_readlane_b32 s82, v3, 10                                 // 00000000F3D0: D2890052 00011503
	s_lshr_b32 s61, s82, 24                                    // 00000000F3D8: 8F3D9852
	s_and_b32 s82, s82, 0xffffff                               // 00000000F3DC: 8652FF52 00FFFFFF
	s_mul_i32 s82, s82, s71                                    // 00000000F3E4: 92524752
	s_mul_i32 s61, s60, s61                                    // 00000000F3E8: 923D3D3C
	s_add_u32 s82, s82, s61                                    // 00000000F3EC: 80523D52
	v_mul_lo_u32 v6, v5, s82                                   // 00000000F3F0: D2850006 0000A505
	v_readlane_b32 s82, v3, 11                                 // 00000000F3F8: D2890052 00011703
	s_lshr_b32 s61, s82, 24                                    // 00000000F400: 8F3D9852
	s_and_b32 s82, s82, 0xffffff                               // 00000000F404: 8652FF52 00FFFFFF
	s_mul_i32 s82, s82, s71                                    // 00000000F40C: 92524752
	s_mul_i32 s61, s60, s61                                    // 00000000F410: 923D3D3C
	s_add_u32 s82, s82, s61                                    // 00000000F414: 80523D52
	v_mul_lo_u32 v7, v4, s82                                   // 00000000F418: D2850007 0000A504
	v_add_u32_e32 v45, v6, v7                                  // 00000000F420: 685A0F06
	v_and_b32_e32 v4, 31, v0                                   // 00000000F424: 2608009F
	v_lshrrev_b32_e32 v4, 1, v4                                // 00000000F428: 20080881
	s_cmp_eq_u32 s88, 0                                        // 00000000F42C: BF068058
	s_cselect_b32 s61, 2, 4                                    // 00000000F430: 853D8482
	v_mul_lo_u32 v4, v4, s61                                   // 00000000F434: D2850004 00007B04
	v_and_b32_e64 v5, v0, 1                                    // 00000000F43C: D1130005 00010300
	v_add_u32_e32 v4, v4, v5                                   // 00000000F444: 68080B04
	v_lshlrev_b32_e32 v4, 2, v4                                // 00000000F448: 24080882
	v_add_u32_e32 v40, v40, v4                                 // 00000000F44C: 68500928
	v_add_u32_e32 v41, v41, v4                                 // 00000000F450: 68520929
	v_add_u32_e32 v42, v42, v4                                 // 00000000F454: 6854092A
	v_add_u32_e32 v43, v43, v4                                 // 00000000F458: 6856092B
	v_add_u32_e32 v44, v44, v4                                 // 00000000F45C: 6858092C
	v_add_u32_e32 v45, v45, v4                                 // 00000000F460: 685A092D
	s_waitcnt lgkmcnt(0)                                       // 00000000F464: BF8CC07F
	s_barrier                                                  // 00000000F468: BF8A0000
	ds_read_b32 v56, v21                                       // 00000000F46C: D86C0000 38000015
	ds_read_b32 v57, v21 offset:64                             // 00000000F474: D86C0040 39000015
	ds_read_b32 v60, v21 offset:2176                           // 00000000F47C: D86C0880 3C000015
	ds_read_b32 v61, v21 offset:2240                           // 00000000F484: D86C08C0 3D000015
	ds_read_b32 v64, v21 offset:4352                           // 00000000F48C: D86C1100 40000015
	ds_read_b32 v65, v21 offset:4416                           // 00000000F494: D86C1140 41000015
	ds_read_b32 v68, v21 offset:6528                           // 00000000F49C: D86C1980 44000015
	ds_read_b32 v69, v21 offset:6592                           // 00000000F4A4: D86C19C0 45000015
	ds_read_b32 v72, v21 offset:8704                           // 00000000F4AC: D86C2200 48000015
	ds_read_b32 v73, v21 offset:8768                           // 00000000F4B4: D86C2240 49000015
	ds_read_b32 v76, v21 offset:10880                          // 00000000F4BC: D86C2A80 4C000015
	ds_read_b32 v77, v21 offset:10944                          // 00000000F4C4: D86C2AC0 4D000015
	ds_read_b32 v80, v21 offset:13056                          // 00000000F4CC: D86C3300 50000015
	ds_read_b32 v81, v21 offset:13120                          // 00000000F4D4: D86C3340 51000015
	ds_read_b32 v84, v21 offset:15232                          // 00000000F4DC: D86C3B80 54000015
	ds_read_b32 v85, v21 offset:15296                          // 00000000F4E4: D86C3BC0 55000015
	ds_read_b32 v88, v21 offset:17408                          // 00000000F4EC: D86C4400 58000015
	ds_read_b32 v89, v21 offset:17472                          // 00000000F4F4: D86C4440 59000015
	ds_read_b32 v92, v21 offset:19584                          // 00000000F4FC: D86C4C80 5C000015
	ds_read_b32 v93, v21 offset:19648                          // 00000000F504: D86C4CC0 5D000015
	ds_read_b32 v96, v21 offset:21760                          // 00000000F50C: D86C5500 60000015
	ds_read_b32 v97, v21 offset:21824                          // 00000000F514: D86C5540 61000015
	ds_read_b32 v100, v21 offset:23936                         // 00000000F51C: D86C5D80 64000015
	ds_read_b32 v101, v21 offset:24000                         // 00000000F524: D86C5DC0 65000015
	ds_read_b32 v104, v21 offset:26112                         // 00000000F52C: D86C6600 68000015
	ds_read_b32 v105, v21 offset:26176                         // 00000000F534: D86C6640 69000015
	ds_read_b32 v108, v21 offset:28288                         // 00000000F53C: D86C6E80 6C000015
	ds_read_b32 v109, v21 offset:28352                         // 00000000F544: D86C6EC0 6D000015
	ds_read_b32 v112, v21 offset:30464                         // 00000000F54C: D86C7700 70000015
	ds_read_b32 v113, v21 offset:30528                         // 00000000F554: D86C7740 71000015
	ds_read_b32 v116, v21 offset:32640                         // 00000000F55C: D86C7F80 74000015
	ds_read_b32 v117, v21 offset:32704                         // 00000000F564: D86C7FC0 75000015
	ds_read_b32 v120, v21 offset:34816                         // 00000000F56C: D86C8800 78000015
	ds_read_b32 v121, v21 offset:34880                         // 00000000F574: D86C8840 79000015
	ds_read_b32 v124, v21 offset:36992                         // 00000000F57C: D86C9080 7C000015
	ds_read_b32 v125, v21 offset:37056                         // 00000000F584: D86C90C0 7D000015
	ds_read_b32 v128, v21 offset:39168                         // 00000000F58C: D86C9900 80000015
	ds_read_b32 v129, v21 offset:39232                         // 00000000F594: D86C9940 81000015
	ds_read_b32 v132, v21 offset:41344                         // 00000000F59C: D86CA180 84000015
	ds_read_b32 v133, v21 offset:41408                         // 00000000F5A4: D86CA1C0 85000015
	ds_read_b32 v136, v21 offset:43520                         // 00000000F5AC: D86CAA00 88000015
	ds_read_b32 v137, v21 offset:43584                         // 00000000F5B4: D86CAA40 89000015
	ds_read_b32 v140, v21 offset:45696                         // 00000000F5BC: D86CB280 8C000015
	ds_read_b32 v141, v21 offset:45760                         // 00000000F5C4: D86CB2C0 8D000015
	ds_read_b32 v144, v21 offset:47872                         // 00000000F5CC: D86CBB00 90000015
	ds_read_b32 v145, v21 offset:47936                         // 00000000F5D4: D86CBB40 91000015
	ds_read_b32 v148, v21 offset:50048                         // 00000000F5DC: D86CC380 94000015
	ds_read_b32 v149, v21 offset:50112                         // 00000000F5E4: D86CC3C0 95000015
	s_waitcnt lgkmcnt(0)                                       // 00000000F5EC: BF8CC07F
	s_mov_b32 s36, -1                                          // 00000000F5F0: BEA400C1
	s_mov_b32 s37, -1                                          // 00000000F5F4: BEA500C1
	v_mov_b32_e32 v7, 0                                        // 00000000F5F8: 7E0E0280
	s_mov_b64 exec, s[36:37]                                   // 00000000F5FC: BEFE0124
	v_mov_b32_e32 v6, v40                                      // 00000000F600: 7E0C0328
	s_mov_b64 s[60:61], 0                                      // 00000000F604: BEBC0180
	v_readlane_b32 s82, v3, 0                                  // 00000000F608: D2890052 00010103
	s_and_b32 s82, s82, 0xffffff                               // 00000000F610: 8652FF52 00FFFFFF
	s_cmp_lt_u32 s82, s66                                      // 00000000F618: BF0A4252
	s_cselect_b32 s20, s36, s60                                // 00000000F61C: 85143C24
	v_readlane_b32 s82, v3, 1                                  // 00000000F620: D2890052 00010303
	s_and_b32 s82, s82, 0xffffff                               // 00000000F628: 8652FF52 00FFFFFF
	s_cmp_lt_u32 s82, s66                                      // 00000000F630: BF0A4252
	s_cselect_b32 s21, s36, s60                                // 00000000F634: 85153C24
	s_mov_b64 exec, s[20:21]                                   // 00000000F638: BEFE0114
	global_atomic_add_f32 v6, v56, s[8:9]                      // 00000000F63C: DD348000 00083806
	global_atomic_add_f32 v6, v60, s[8:9] offset:256           // 00000000F644: DD348100 00083C06
	global_atomic_add_f32 v6, v64, s[8:9] offset:512           // 00000000F64C: DD348200 00084006
	global_atomic_add_f32 v6, v68, s[8:9] offset:768           // 00000000F654: DD348300 00084406
	global_atomic_add_f32 v6, v72, s[8:9] offset:1024          // 00000000F65C: DD348400 00084806
	global_atomic_add_f32 v6, v76, s[8:9] offset:1280          // 00000000F664: DD348500 00084C06
	global_atomic_add_f32 v6, v80, s[8:9] offset:1536          // 00000000F66C: DD348600 00085006
	global_atomic_add_f32 v6, v84, s[8:9] offset:1792          // 00000000F674: DD348700 00085406
	s_mov_b64 exec, s[36:37]                                   // 00000000F67C: BEFE0124
	v_mov_b32_e32 v6, v41                                      // 00000000F680: 7E0C0329
	s_mov_b64 s[60:61], 0                                      // 00000000F684: BEBC0180
	v_readlane_b32 s82, v3, 2                                  // 00000000F688: D2890052 00010503
	s_and_b32 s82, s82, 0xffffff                               // 00000000F690: 8652FF52 00FFFFFF
	s_cmp_lt_u32 s82, s66                                      // 00000000F698: BF0A4252
	s_cselect_b32 s20, s36, s60                                // 00000000F69C: 85143C24
	v_readlane_b32 s82, v3, 3                                  // 00000000F6A0: D2890052 00010703
	s_and_b32 s82, s82, 0xffffff                               // 00000000F6A8: 8652FF52 00FFFFFF
	s_cmp_lt_u32 s82, s66                                      // 00000000F6B0: BF0A4252
	s_cselect_b32 s21, s36, s60                                // 00000000F6B4: 85153C24
	s_mov_b64 exec, s[20:21]                                   // 00000000F6B8: BEFE0114
	global_atomic_add_f32 v6, v57, s[8:9]                      // 00000000F6BC: DD348000 00083906
	global_atomic_add_f32 v6, v61, s[8:9] offset:256           // 00000000F6C4: DD348100 00083D06
	global_atomic_add_f32 v6, v65, s[8:9] offset:512           // 00000000F6CC: DD348200 00084106
	global_atomic_add_f32 v6, v69, s[8:9] offset:768           // 00000000F6D4: DD348300 00084506
	global_atomic_add_f32 v6, v73, s[8:9] offset:1024          // 00000000F6DC: DD348400 00084906
	global_atomic_add_f32 v6, v77, s[8:9] offset:1280          // 00000000F6E4: DD348500 00084D06
	global_atomic_add_f32 v6, v81, s[8:9] offset:1536          // 00000000F6EC: DD348600 00085106
	global_atomic_add_f32 v6, v85, s[8:9] offset:1792          // 00000000F6F4: DD348700 00085506
	s_mov_b64 exec, s[36:37]                                   // 00000000F6FC: BEFE0124
	v_mov_b32_e32 v6, v42                                      // 00000000F700: 7E0C032A
	s_mov_b64 s[60:61], 0                                      // 00000000F704: BEBC0180
	v_readlane_b32 s82, v3, 4                                  // 00000000F708: D2890052 00010903
	s_and_b32 s82, s82, 0xffffff                               // 00000000F710: 8652FF52 00FFFFFF
	s_cmp_lt_u32 s82, s66                                      // 00000000F718: BF0A4252
	s_cselect_b32 s20, s36, s60                                // 00000000F71C: 85143C24
	v_readlane_b32 s82, v3, 5                                  // 00000000F720: D2890052 00010B03
	s_and_b32 s82, s82, 0xffffff                               // 00000000F728: 8652FF52 00FFFFFF
	s_cmp_lt_u32 s82, s66                                      // 00000000F730: BF0A4252
	s_cselect_b32 s21, s36, s60                                // 00000000F734: 85153C24
	s_mov_b64 exec, s[20:21]                                   // 00000000F738: BEFE0114
	global_atomic_add_f32 v6, v88, s[8:9]                      // 00000000F73C: DD348000 00085806
	global_atomic_add_f32 v6, v92, s[8:9] offset:256           // 00000000F744: DD348100 00085C06
	global_atomic_add_f32 v6, v96, s[8:9] offset:512           // 00000000F74C: DD348200 00086006
	global_atomic_add_f32 v6, v100, s[8:9] offset:768          // 00000000F754: DD348300 00086406
	global_atomic_add_f32 v6, v104, s[8:9] offset:1024         // 00000000F75C: DD348400 00086806
	global_atomic_add_f32 v6, v108, s[8:9] offset:1280         // 00000000F764: DD348500 00086C06
	global_atomic_add_f32 v6, v112, s[8:9] offset:1536         // 00000000F76C: DD348600 00087006
	global_atomic_add_f32 v6, v116, s[8:9] offset:1792         // 00000000F774: DD348700 00087406
	s_mov_b64 exec, s[36:37]                                   // 00000000F77C: BEFE0124
	v_mov_b32_e32 v6, v43                                      // 00000000F780: 7E0C032B
	s_mov_b64 s[60:61], 0                                      // 00000000F784: BEBC0180
	v_readlane_b32 s82, v3, 6                                  // 00000000F788: D2890052 00010D03
	s_and_b32 s82, s82, 0xffffff                               // 00000000F790: 8652FF52 00FFFFFF
	s_cmp_lt_u32 s82, s66                                      // 00000000F798: BF0A4252
	s_cselect_b32 s20, s36, s60                                // 00000000F79C: 85143C24
	v_readlane_b32 s82, v3, 7                                  // 00000000F7A0: D2890052 00010F03
	s_and_b32 s82, s82, 0xffffff                               // 00000000F7A8: 8652FF52 00FFFFFF
	s_cmp_lt_u32 s82, s66                                      // 00000000F7B0: BF0A4252
	s_cselect_b32 s21, s36, s60                                // 00000000F7B4: 85153C24
	s_mov_b64 exec, s[20:21]                                   // 00000000F7B8: BEFE0114
	global_atomic_add_f32 v6, v89, s[8:9]                      // 00000000F7BC: DD348000 00085906
	global_atomic_add_f32 v6, v93, s[8:9] offset:256           // 00000000F7C4: DD348100 00085D06
	global_atomic_add_f32 v6, v97, s[8:9] offset:512           // 00000000F7CC: DD348200 00086106
	global_atomic_add_f32 v6, v101, s[8:9] offset:768          // 00000000F7D4: DD348300 00086506
	global_atomic_add_f32 v6, v105, s[8:9] offset:1024         // 00000000F7DC: DD348400 00086906
	global_atomic_add_f32 v6, v109, s[8:9] offset:1280         // 00000000F7E4: DD348500 00086D06
	global_atomic_add_f32 v6, v113, s[8:9] offset:1536         // 00000000F7EC: DD348600 00087106
	global_atomic_add_f32 v6, v117, s[8:9] offset:1792         // 00000000F7F4: DD348700 00087506
	s_mov_b64 exec, s[36:37]                                   // 00000000F7FC: BEFE0124
	v_mov_b32_e32 v6, v44                                      // 00000000F800: 7E0C032C
	s_mov_b64 s[60:61], 0                                      // 00000000F804: BEBC0180
	v_readlane_b32 s82, v3, 8                                  // 00000000F808: D2890052 00011103
	s_and_b32 s82, s82, 0xffffff                               // 00000000F810: 8652FF52 00FFFFFF
	s_cmp_lt_u32 s82, s66                                      // 00000000F818: BF0A4252
	s_cselect_b32 s20, s36, s60                                // 00000000F81C: 85143C24
	v_readlane_b32 s82, v3, 9                                  // 00000000F820: D2890052 00011303
	s_and_b32 s82, s82, 0xffffff                               // 00000000F828: 8652FF52 00FFFFFF
	s_cmp_lt_u32 s82, s66                                      // 00000000F830: BF0A4252
	s_cselect_b32 s21, s36, s60                                // 00000000F834: 85153C24
	s_mov_b64 exec, s[20:21]                                   // 00000000F838: BEFE0114
	global_atomic_add_f32 v6, v120, s[8:9]                     // 00000000F83C: DD348000 00087806
	global_atomic_add_f32 v6, v124, s[8:9] offset:256          // 00000000F844: DD348100 00087C06
	global_atomic_add_f32 v6, v128, s[8:9] offset:512          // 00000000F84C: DD348200 00088006
	global_atomic_add_f32 v6, v132, s[8:9] offset:768          // 00000000F854: DD348300 00088406
	global_atomic_add_f32 v6, v136, s[8:9] offset:1024         // 00000000F85C: DD348400 00088806
	global_atomic_add_f32 v6, v140, s[8:9] offset:1280         // 00000000F864: DD348500 00088C06
	global_atomic_add_f32 v6, v144, s[8:9] offset:1536         // 00000000F86C: DD348600 00089006
	global_atomic_add_f32 v6, v148, s[8:9] offset:1792         // 00000000F874: DD348700 00089406
	s_mov_b64 exec, s[36:37]                                   // 00000000F87C: BEFE0124
	v_mov_b32_e32 v6, v45                                      // 00000000F880: 7E0C032D
	s_mov_b64 s[60:61], 0                                      // 00000000F884: BEBC0180
	v_readlane_b32 s82, v3, 10                                 // 00000000F888: D2890052 00011503
	s_and_b32 s82, s82, 0xffffff                               // 00000000F890: 8652FF52 00FFFFFF
	s_cmp_lt_u32 s82, s66                                      // 00000000F898: BF0A4252
	s_cselect_b32 s20, s36, s60                                // 00000000F89C: 85143C24
	v_readlane_b32 s82, v3, 11                                 // 00000000F8A0: D2890052 00011703
	s_and_b32 s82, s82, 0xffffff                               // 00000000F8A8: 8652FF52 00FFFFFF
	s_cmp_lt_u32 s82, s66                                      // 00000000F8B0: BF0A4252
	s_cselect_b32 s21, s36, s60                                // 00000000F8B4: 85153C24
	s_mov_b64 exec, s[20:21]                                   // 00000000F8B8: BEFE0114
	global_atomic_add_f32 v6, v121, s[8:9]                     // 00000000F8BC: DD348000 00087906
	global_atomic_add_f32 v6, v125, s[8:9] offset:256          // 00000000F8C4: DD348100 00087D06
	global_atomic_add_f32 v6, v129, s[8:9] offset:512          // 00000000F8CC: DD348200 00088106
	global_atomic_add_f32 v6, v133, s[8:9] offset:768          // 00000000F8D4: DD348300 00088506
	global_atomic_add_f32 v6, v137, s[8:9] offset:1024         // 00000000F8DC: DD348400 00088906
	global_atomic_add_f32 v6, v141, s[8:9] offset:1280         // 00000000F8E4: DD348500 00088D06
	global_atomic_add_f32 v6, v145, s[8:9] offset:1536         // 00000000F8EC: DD348600 00089106
	global_atomic_add_f32 v6, v149, s[8:9] offset:1792         // 00000000F8F4: DD348700 00089506
	s_mov_b64 exec, s[36:37]                                   // 00000000F8FC: BEFE0124
	ds_write_b64 v20, v[58:59]                                 // 00000000F900: D89A0000 00003A14
	ds_write_b64 v20, v[62:63] offset:17408                    // 00000000F908: D89A4400 00003E14
	ds_write_b64 v20, v[66:67] offset:34816                    // 00000000F910: D89A8800 00004214
	ds_write_b64 v20, v[70:71] offset:2176                     // 00000000F918: D89A0880 00004614
	ds_write_b64 v20, v[74:75] offset:19584                    // 00000000F920: D89A4C80 00004A14
	ds_write_b64 v20, v[78:79] offset:36992                    // 00000000F928: D89A9080 00004E14
	ds_write_b64 v20, v[82:83] offset:4352                     // 00000000F930: D89A1100 00005214
	ds_write_b64 v20, v[86:87] offset:21760                    // 00000000F938: D89A5500 00005614
	ds_write_b64 v20, v[90:91] offset:39168                    // 00000000F940: D89A9900 00005A14
	ds_write_b64 v20, v[94:95] offset:6528                     // 00000000F948: D89A1980 00005E14
	ds_write_b64 v20, v[98:99] offset:23936                    // 00000000F950: D89A5D80 00006214
	ds_write_b64 v20, v[102:103] offset:41344                  // 00000000F958: D89AA180 00006614
	ds_write_b64 v20, v[106:107] offset:8704                   // 00000000F960: D89A2200 00006A14
	ds_write_b64 v20, v[110:111] offset:26112                  // 00000000F968: D89A6600 00006E14
	ds_write_b64 v20, v[114:115] offset:43520                  // 00000000F970: D89AAA00 00007214
	ds_write_b64 v20, v[118:119] offset:10880                  // 00000000F978: D89A2A80 00007614
	ds_write_b64 v20, v[122:123] offset:28288                  // 00000000F980: D89A6E80 00007A14
	ds_write_b64 v20, v[126:127] offset:45696                  // 00000000F988: D89AB280 00007E14
	ds_write_b64 v20, v[130:131] offset:13056                  // 00000000F990: D89A3300 00008214
	ds_write_b64 v20, v[134:135] offset:30464                  // 00000000F998: D89A7700 00008614
	ds_write_b64 v20, v[138:139] offset:47872                  // 00000000F9A0: D89ABB00 00008A14
	ds_write_b64 v20, v[142:143] offset:15232                  // 00000000F9A8: D89A3B80 00008E14
	ds_write_b64 v20, v[146:147] offset:32640                  // 00000000F9B0: D89A7F80 00009214
	ds_write_b64 v20, v[150:151] offset:50048                  // 00000000F9B8: D89AC380 00009614
	s_waitcnt lgkmcnt(0)                                       // 00000000F9C0: BF8CC07F
	s_barrier                                                  // 00000000F9C4: BF8A0000
	ds_read_b32 v58, v21                                       // 00000000F9C8: D86C0000 3A000015
	ds_read_b32 v59, v21 offset:64                             // 00000000F9D0: D86C0040 3B000015
	ds_read_b32 v62, v21 offset:2176                           // 00000000F9D8: D86C0880 3E000015
	ds_read_b32 v63, v21 offset:2240                           // 00000000F9E0: D86C08C0 3F000015
	ds_read_b32 v66, v21 offset:4352                           // 00000000F9E8: D86C1100 42000015
	ds_read_b32 v67, v21 offset:4416                           // 00000000F9F0: D86C1140 43000015
	ds_read_b32 v70, v21 offset:6528                           // 00000000F9F8: D86C1980 46000015
	ds_read_b32 v71, v21 offset:6592                           // 00000000FA00: D86C19C0 47000015
	ds_read_b32 v74, v21 offset:8704                           // 00000000FA08: D86C2200 4A000015
	ds_read_b32 v75, v21 offset:8768                           // 00000000FA10: D86C2240 4B000015
	ds_read_b32 v78, v21 offset:10880                          // 00000000FA18: D86C2A80 4E000015
	ds_read_b32 v79, v21 offset:10944                          // 00000000FA20: D86C2AC0 4F000015
	ds_read_b32 v82, v21 offset:13056                          // 00000000FA28: D86C3300 52000015
	ds_read_b32 v83, v21 offset:13120                          // 00000000FA30: D86C3340 53000015
	ds_read_b32 v86, v21 offset:15232                          // 00000000FA38: D86C3B80 56000015
	ds_read_b32 v87, v21 offset:15296                          // 00000000FA40: D86C3BC0 57000015
	ds_read_b32 v90, v21 offset:17408                          // 00000000FA48: D86C4400 5A000015
	ds_read_b32 v91, v21 offset:17472                          // 00000000FA50: D86C4440 5B000015
	ds_read_b32 v94, v21 offset:19584                          // 00000000FA58: D86C4C80 5E000015
	ds_read_b32 v95, v21 offset:19648                          // 00000000FA60: D86C4CC0 5F000015
	ds_read_b32 v98, v21 offset:21760                          // 00000000FA68: D86C5500 62000015
	ds_read_b32 v99, v21 offset:21824                          // 00000000FA70: D86C5540 63000015
	ds_read_b32 v102, v21 offset:23936                         // 00000000FA78: D86C5D80 66000015
	ds_read_b32 v103, v21 offset:24000                         // 00000000FA80: D86C5DC0 67000015
	ds_read_b32 v106, v21 offset:26112                         // 00000000FA88: D86C6600 6A000015
	ds_read_b32 v107, v21 offset:26176                         // 00000000FA90: D86C6640 6B000015
	ds_read_b32 v110, v21 offset:28288                         // 00000000FA98: D86C6E80 6E000015
	ds_read_b32 v111, v21 offset:28352                         // 00000000FAA0: D86C6EC0 6F000015
	ds_read_b32 v114, v21 offset:30464                         // 00000000FAA8: D86C7700 72000015
	ds_read_b32 v115, v21 offset:30528                         // 00000000FAB0: D86C7740 73000015
	ds_read_b32 v118, v21 offset:32640                         // 00000000FAB8: D86C7F80 76000015
	ds_read_b32 v119, v21 offset:32704                         // 00000000FAC0: D86C7FC0 77000015
	ds_read_b32 v122, v21 offset:34816                         // 00000000FAC8: D86C8800 7A000015
	ds_read_b32 v123, v21 offset:34880                         // 00000000FAD0: D86C8840 7B000015
	ds_read_b32 v126, v21 offset:36992                         // 00000000FAD8: D86C9080 7E000015
	ds_read_b32 v127, v21 offset:37056                         // 00000000FAE0: D86C90C0 7F000015
	ds_read_b32 v130, v21 offset:39168                         // 00000000FAE8: D86C9900 82000015
	ds_read_b32 v131, v21 offset:39232                         // 00000000FAF0: D86C9940 83000015
	ds_read_b32 v134, v21 offset:41344                         // 00000000FAF8: D86CA180 86000015
	ds_read_b32 v135, v21 offset:41408                         // 00000000FB00: D86CA1C0 87000015
	ds_read_b32 v138, v21 offset:43520                         // 00000000FB08: D86CAA00 8A000015
	ds_read_b32 v139, v21 offset:43584                         // 00000000FB10: D86CAA40 8B000015
	ds_read_b32 v142, v21 offset:45696                         // 00000000FB18: D86CB280 8E000015
	ds_read_b32 v143, v21 offset:45760                         // 00000000FB20: D86CB2C0 8F000015
	ds_read_b32 v146, v21 offset:47872                         // 00000000FB28: D86CBB00 92000015
	ds_read_b32 v147, v21 offset:47936                         // 00000000FB30: D86CBB40 93000015
	ds_read_b32 v150, v21 offset:50048                         // 00000000FB38: D86CC380 96000015
	ds_read_b32 v151, v21 offset:50112                         // 00000000FB40: D86CC3C0 97000015
	s_waitcnt lgkmcnt(0)                                       // 00000000FB48: BF8CC07F
	v_mov_b32_e32 v7, 0                                        // 00000000FB4C: 7E0E0280
	s_mov_b64 exec, s[36:37]                                   // 00000000FB50: BEFE0124
	v_mov_b32_e32 v6, v40                                      // 00000000FB54: 7E0C0328
	s_mov_b64 s[60:61], 0                                      // 00000000FB58: BEBC0180
	v_readlane_b32 s82, v3, 0                                  // 00000000FB5C: D2890052 00010103
	s_and_b32 s82, s82, 0xffffff                               // 00000000FB64: 8652FF52 00FFFFFF
	s_cmp_lt_u32 s82, s66                                      // 00000000FB6C: BF0A4252
	s_cselect_b32 s20, s36, s60                                // 00000000FB70: 85143C24
	v_readlane_b32 s82, v3, 1                                  // 00000000FB74: D2890052 00010303
	s_and_b32 s82, s82, 0xffffff                               // 00000000FB7C: 8652FF52 00FFFFFF
	s_cmp_lt_u32 s82, s66                                      // 00000000FB84: BF0A4252
	s_cselect_b32 s21, s36, s60                                // 00000000FB88: 85153C24
	s_mov_b64 exec, s[20:21]                                   // 00000000FB8C: BEFE0114
	global_atomic_add_f32 v6, v58, s[8:9] offset:8             // 00000000FB90: DD348008 00083A06
	global_atomic_add_f32 v6, v62, s[8:9] offset:264           // 00000000FB98: DD348108 00083E06
	global_atomic_add_f32 v6, v66, s[8:9] offset:520           // 00000000FBA0: DD348208 00084206
	global_atomic_add_f32 v6, v70, s[8:9] offset:776           // 00000000FBA8: DD348308 00084606
	global_atomic_add_f32 v6, v74, s[8:9] offset:1032          // 00000000FBB0: DD348408 00084A06
	global_atomic_add_f32 v6, v78, s[8:9] offset:1288          // 00000000FBB8: DD348508 00084E06
	global_atomic_add_f32 v6, v82, s[8:9] offset:1544          // 00000000FBC0: DD348608 00085206
	global_atomic_add_f32 v6, v86, s[8:9] offset:1800          // 00000000FBC8: DD348708 00085606
	s_mov_b64 exec, s[36:37]                                   // 00000000FBD0: BEFE0124
	v_mov_b32_e32 v6, v41                                      // 00000000FBD4: 7E0C0329
	s_mov_b64 s[60:61], 0                                      // 00000000FBD8: BEBC0180
	v_readlane_b32 s82, v3, 2                                  // 00000000FBDC: D2890052 00010503
	s_and_b32 s82, s82, 0xffffff                               // 00000000FBE4: 8652FF52 00FFFFFF
	s_cmp_lt_u32 s82, s66                                      // 00000000FBEC: BF0A4252
	s_cselect_b32 s20, s36, s60                                // 00000000FBF0: 85143C24
	v_readlane_b32 s82, v3, 3                                  // 00000000FBF4: D2890052 00010703
	s_and_b32 s82, s82, 0xffffff                               // 00000000FBFC: 8652FF52 00FFFFFF
	s_cmp_lt_u32 s82, s66                                      // 00000000FC04: BF0A4252
	s_cselect_b32 s21, s36, s60                                // 00000000FC08: 85153C24
	s_mov_b64 exec, s[20:21]                                   // 00000000FC0C: BEFE0114
	global_atomic_add_f32 v6, v59, s[8:9] offset:8             // 00000000FC10: DD348008 00083B06
	global_atomic_add_f32 v6, v63, s[8:9] offset:264           // 00000000FC18: DD348108 00083F06
	global_atomic_add_f32 v6, v67, s[8:9] offset:520           // 00000000FC20: DD348208 00084306
	global_atomic_add_f32 v6, v71, s[8:9] offset:776           // 00000000FC28: DD348308 00084706
	global_atomic_add_f32 v6, v75, s[8:9] offset:1032          // 00000000FC30: DD348408 00084B06
	global_atomic_add_f32 v6, v79, s[8:9] offset:1288          // 00000000FC38: DD348508 00084F06
	global_atomic_add_f32 v6, v83, s[8:9] offset:1544          // 00000000FC40: DD348608 00085306
	global_atomic_add_f32 v6, v87, s[8:9] offset:1800          // 00000000FC48: DD348708 00085706
	s_mov_b64 exec, s[36:37]                                   // 00000000FC50: BEFE0124
	v_mov_b32_e32 v6, v42                                      // 00000000FC54: 7E0C032A
	s_mov_b64 s[60:61], 0                                      // 00000000FC58: BEBC0180
	v_readlane_b32 s82, v3, 4                                  // 00000000FC5C: D2890052 00010903
	s_and_b32 s82, s82, 0xffffff                               // 00000000FC64: 8652FF52 00FFFFFF
	s_cmp_lt_u32 s82, s66                                      // 00000000FC6C: BF0A4252
	s_cselect_b32 s20, s36, s60                                // 00000000FC70: 85143C24
	v_readlane_b32 s82, v3, 5                                  // 00000000FC74: D2890052 00010B03
	s_and_b32 s82, s82, 0xffffff                               // 00000000FC7C: 8652FF52 00FFFFFF
	s_cmp_lt_u32 s82, s66                                      // 00000000FC84: BF0A4252
	s_cselect_b32 s21, s36, s60                                // 00000000FC88: 85153C24
	s_mov_b64 exec, s[20:21]                                   // 00000000FC8C: BEFE0114
	global_atomic_add_f32 v6, v90, s[8:9] offset:8             // 00000000FC90: DD348008 00085A06
	global_atomic_add_f32 v6, v94, s[8:9] offset:264           // 00000000FC98: DD348108 00085E06
	global_atomic_add_f32 v6, v98, s[8:9] offset:520           // 00000000FCA0: DD348208 00086206
	global_atomic_add_f32 v6, v102, s[8:9] offset:776          // 00000000FCA8: DD348308 00086606
	global_atomic_add_f32 v6, v106, s[8:9] offset:1032         // 00000000FCB0: DD348408 00086A06
	global_atomic_add_f32 v6, v110, s[8:9] offset:1288         // 00000000FCB8: DD348508 00086E06
	global_atomic_add_f32 v6, v114, s[8:9] offset:1544         // 00000000FCC0: DD348608 00087206
	global_atomic_add_f32 v6, v118, s[8:9] offset:1800         // 00000000FCC8: DD348708 00087606
	s_mov_b64 exec, s[36:37]                                   // 00000000FCD0: BEFE0124
	v_mov_b32_e32 v6, v43                                      // 00000000FCD4: 7E0C032B
	s_mov_b64 s[60:61], 0                                      // 00000000FCD8: BEBC0180
	v_readlane_b32 s82, v3, 6                                  // 00000000FCDC: D2890052 00010D03
	s_and_b32 s82, s82, 0xffffff                               // 00000000FCE4: 8652FF52 00FFFFFF
	s_cmp_lt_u32 s82, s66                                      // 00000000FCEC: BF0A4252
	s_cselect_b32 s20, s36, s60                                // 00000000FCF0: 85143C24
	v_readlane_b32 s82, v3, 7                                  // 00000000FCF4: D2890052 00010F03
	s_and_b32 s82, s82, 0xffffff                               // 00000000FCFC: 8652FF52 00FFFFFF
	s_cmp_lt_u32 s82, s66                                      // 00000000FD04: BF0A4252
	s_cselect_b32 s21, s36, s60                                // 00000000FD08: 85153C24
	s_mov_b64 exec, s[20:21]                                   // 00000000FD0C: BEFE0114
	global_atomic_add_f32 v6, v91, s[8:9] offset:8             // 00000000FD10: DD348008 00085B06
	global_atomic_add_f32 v6, v95, s[8:9] offset:264           // 00000000FD18: DD348108 00085F06
	global_atomic_add_f32 v6, v99, s[8:9] offset:520           // 00000000FD20: DD348208 00086306
	global_atomic_add_f32 v6, v103, s[8:9] offset:776          // 00000000FD28: DD348308 00086706
	global_atomic_add_f32 v6, v107, s[8:9] offset:1032         // 00000000FD30: DD348408 00086B06
	global_atomic_add_f32 v6, v111, s[8:9] offset:1288         // 00000000FD38: DD348508 00086F06
	global_atomic_add_f32 v6, v115, s[8:9] offset:1544         // 00000000FD40: DD348608 00087306
	global_atomic_add_f32 v6, v119, s[8:9] offset:1800         // 00000000FD48: DD348708 00087706
	s_mov_b64 exec, s[36:37]                                   // 00000000FD50: BEFE0124
	v_mov_b32_e32 v6, v44                                      // 00000000FD54: 7E0C032C
	s_mov_b64 s[60:61], 0                                      // 00000000FD58: BEBC0180
	v_readlane_b32 s82, v3, 8                                  // 00000000FD5C: D2890052 00011103
	s_and_b32 s82, s82, 0xffffff                               // 00000000FD64: 8652FF52 00FFFFFF
	s_cmp_lt_u32 s82, s66                                      // 00000000FD6C: BF0A4252
	s_cselect_b32 s20, s36, s60                                // 00000000FD70: 85143C24
	v_readlane_b32 s82, v3, 9                                  // 00000000FD74: D2890052 00011303
	s_and_b32 s82, s82, 0xffffff                               // 00000000FD7C: 8652FF52 00FFFFFF
	s_cmp_lt_u32 s82, s66                                      // 00000000FD84: BF0A4252
	s_cselect_b32 s21, s36, s60                                // 00000000FD88: 85153C24
	s_mov_b64 exec, s[20:21]                                   // 00000000FD8C: BEFE0114
	global_atomic_add_f32 v6, v122, s[8:9] offset:8            // 00000000FD90: DD348008 00087A06
	global_atomic_add_f32 v6, v126, s[8:9] offset:264          // 00000000FD98: DD348108 00087E06
	global_atomic_add_f32 v6, v130, s[8:9] offset:520          // 00000000FDA0: DD348208 00088206
	global_atomic_add_f32 v6, v134, s[8:9] offset:776          // 00000000FDA8: DD348308 00088606
	global_atomic_add_f32 v6, v138, s[8:9] offset:1032         // 00000000FDB0: DD348408 00088A06
	global_atomic_add_f32 v6, v142, s[8:9] offset:1288         // 00000000FDB8: DD348508 00088E06
	global_atomic_add_f32 v6, v146, s[8:9] offset:1544         // 00000000FDC0: DD348608 00089206
	global_atomic_add_f32 v6, v150, s[8:9] offset:1800         // 00000000FDC8: DD348708 00089606
	s_mov_b64 exec, s[36:37]                                   // 00000000FDD0: BEFE0124
	v_mov_b32_e32 v6, v45                                      // 00000000FDD4: 7E0C032D
	s_mov_b64 s[60:61], 0                                      // 00000000FDD8: BEBC0180
	v_readlane_b32 s82, v3, 10                                 // 00000000FDDC: D2890052 00011503
	s_and_b32 s82, s82, 0xffffff                               // 00000000FDE4: 8652FF52 00FFFFFF
	s_cmp_lt_u32 s82, s66                                      // 00000000FDEC: BF0A4252
	s_cselect_b32 s20, s36, s60                                // 00000000FDF0: 85143C24
	v_readlane_b32 s82, v3, 11                                 // 00000000FDF4: D2890052 00011703
	s_and_b32 s82, s82, 0xffffff                               // 00000000FDFC: 8652FF52 00FFFFFF
	s_cmp_lt_u32 s82, s66                                      // 00000000FE04: BF0A4252
	s_cselect_b32 s21, s36, s60                                // 00000000FE08: 85153C24
	s_mov_b64 exec, s[20:21]                                   // 00000000FE0C: BEFE0114
	global_atomic_add_f32 v6, v123, s[8:9] offset:8            // 00000000FE10: DD348008 00087B06
	global_atomic_add_f32 v6, v127, s[8:9] offset:264          // 00000000FE18: DD348108 00087F06
	global_atomic_add_f32 v6, v131, s[8:9] offset:520          // 00000000FE20: DD348208 00088306
	global_atomic_add_f32 v6, v135, s[8:9] offset:776          // 00000000FE28: DD348308 00088706
	global_atomic_add_f32 v6, v139, s[8:9] offset:1032         // 00000000FE30: DD348408 00088B06
	global_atomic_add_f32 v6, v143, s[8:9] offset:1288         // 00000000FE38: DD348508 00088F06
	global_atomic_add_f32 v6, v147, s[8:9] offset:1544         // 00000000FE40: DD348608 00089306
	global_atomic_add_f32 v6, v151, s[8:9] offset:1800         // 00000000FE48: DD348708 00089706
	s_mov_b64 exec, s[36:37]                                   // 00000000FE50: BEFE0124
	ds_write_b64 v20, v[152:153]                               // 00000000FE54: D89A0000 00009814
	ds_write_b64 v20, v[156:157] offset:17408                  // 00000000FE5C: D89A4400 00009C14
	ds_write_b64 v20, v[160:161] offset:34816                  // 00000000FE64: D89A8800 0000A014
	ds_write_b64 v20, v[164:165] offset:2176                   // 00000000FE6C: D89A0880 0000A414
	ds_write_b64 v20, v[168:169] offset:19584                  // 00000000FE74: D89A4C80 0000A814
	ds_write_b64 v20, v[172:173] offset:36992                  // 00000000FE7C: D89A9080 0000AC14
	ds_write_b64 v20, v[176:177] offset:4352                   // 00000000FE84: D89A1100 0000B014
	ds_write_b64 v20, v[180:181] offset:21760                  // 00000000FE8C: D89A5500 0000B414
	ds_write_b64 v20, v[184:185] offset:39168                  // 00000000FE94: D89A9900 0000B814
	ds_write_b64 v20, v[188:189] offset:6528                   // 00000000FE9C: D89A1980 0000BC14
	ds_write_b64 v20, v[192:193] offset:23936                  // 00000000FEA4: D89A5D80 0000C014
	ds_write_b64 v20, v[196:197] offset:41344                  // 00000000FEAC: D89AA180 0000C414
	ds_write_b64 v20, v[200:201] offset:8704                   // 00000000FEB4: D89A2200 0000C814
	ds_write_b64 v20, v[204:205] offset:26112                  // 00000000FEBC: D89A6600 0000CC14
	ds_write_b64 v20, v[208:209] offset:43520                  // 00000000FEC4: D89AAA00 0000D014
	ds_write_b64 v20, v[212:213] offset:10880                  // 00000000FECC: D89A2A80 0000D414
	ds_write_b64 v20, v[216:217] offset:28288                  // 00000000FED4: D89A6E80 0000D814
	ds_write_b64 v20, v[220:221] offset:45696                  // 00000000FEDC: D89AB280 0000DC14
	ds_write_b64 v20, v[224:225] offset:13056                  // 00000000FEE4: D89A3300 0000E014
	ds_write_b64 v20, v[228:229] offset:30464                  // 00000000FEEC: D89A7700 0000E414
	ds_write_b64 v20, v[232:233] offset:47872                  // 00000000FEF4: D89ABB00 0000E814
	ds_write_b64 v20, v[236:237] offset:15232                  // 00000000FEFC: D89A3B80 0000EC14
	ds_write_b64 v20, v[240:241] offset:32640                  // 00000000FF04: D89A7F80 0000F014
	ds_write_b64 v20, v[244:245] offset:50048                  // 00000000FF0C: D89AC380 0000F414
	s_waitcnt lgkmcnt(0)                                       // 00000000FF14: BF8CC07F
	s_barrier                                                  // 00000000FF18: BF8A0000
	ds_read_b32 v152, v21                                      // 00000000FF1C: D86C0000 98000015
	ds_read_b32 v153, v21 offset:64                            // 00000000FF24: D86C0040 99000015
	ds_read_b32 v156, v21 offset:2176                          // 00000000FF2C: D86C0880 9C000015
	ds_read_b32 v157, v21 offset:2240                          // 00000000FF34: D86C08C0 9D000015
	ds_read_b32 v160, v21 offset:4352                          // 00000000FF3C: D86C1100 A0000015
	ds_read_b32 v161, v21 offset:4416                          // 00000000FF44: D86C1140 A1000015
	ds_read_b32 v164, v21 offset:6528                          // 00000000FF4C: D86C1980 A4000015
	ds_read_b32 v165, v21 offset:6592                          // 00000000FF54: D86C19C0 A5000015
	ds_read_b32 v168, v21 offset:8704                          // 00000000FF5C: D86C2200 A8000015
	ds_read_b32 v169, v21 offset:8768                          // 00000000FF64: D86C2240 A9000015
	ds_read_b32 v172, v21 offset:10880                         // 00000000FF6C: D86C2A80 AC000015
	ds_read_b32 v173, v21 offset:10944                         // 00000000FF74: D86C2AC0 AD000015
	ds_read_b32 v176, v21 offset:13056                         // 00000000FF7C: D86C3300 B0000015
	ds_read_b32 v177, v21 offset:13120                         // 00000000FF84: D86C3340 B1000015
	ds_read_b32 v180, v21 offset:15232                         // 00000000FF8C: D86C3B80 B4000015
	ds_read_b32 v181, v21 offset:15296                         // 00000000FF94: D86C3BC0 B5000015
	ds_read_b32 v184, v21 offset:17408                         // 00000000FF9C: D86C4400 B8000015
	ds_read_b32 v185, v21 offset:17472                         // 00000000FFA4: D86C4440 B9000015
	ds_read_b32 v188, v21 offset:19584                         // 00000000FFAC: D86C4C80 BC000015
	ds_read_b32 v189, v21 offset:19648                         // 00000000FFB4: D86C4CC0 BD000015
	ds_read_b32 v192, v21 offset:21760                         // 00000000FFBC: D86C5500 C0000015
	ds_read_b32 v193, v21 offset:21824                         // 00000000FFC4: D86C5540 C1000015
	ds_read_b32 v196, v21 offset:23936                         // 00000000FFCC: D86C5D80 C4000015
	ds_read_b32 v197, v21 offset:24000                         // 00000000FFD4: D86C5DC0 C5000015
	ds_read_b32 v200, v21 offset:26112                         // 00000000FFDC: D86C6600 C8000015
	ds_read_b32 v201, v21 offset:26176                         // 00000000FFE4: D86C6640 C9000015
	ds_read_b32 v204, v21 offset:28288                         // 00000000FFEC: D86C6E80 CC000015
	ds_read_b32 v205, v21 offset:28352                         // 00000000FFF4: D86C6EC0 CD000015
	ds_read_b32 v208, v21 offset:30464                         // 00000000FFFC: D86C7700 D0000015
	ds_read_b32 v209, v21 offset:30528                         // 000000010004: D86C7740 D1000015
	ds_read_b32 v212, v21 offset:32640                         // 00000001000C: D86C7F80 D4000015
	ds_read_b32 v213, v21 offset:32704                         // 000000010014: D86C7FC0 D5000015
	ds_read_b32 v216, v21 offset:34816                         // 00000001001C: D86C8800 D8000015
	ds_read_b32 v217, v21 offset:34880                         // 000000010024: D86C8840 D9000015
	ds_read_b32 v220, v21 offset:36992                         // 00000001002C: D86C9080 DC000015
	ds_read_b32 v221, v21 offset:37056                         // 000000010034: D86C90C0 DD000015
	ds_read_b32 v224, v21 offset:39168                         // 00000001003C: D86C9900 E0000015
	ds_read_b32 v225, v21 offset:39232                         // 000000010044: D86C9940 E1000015
	ds_read_b32 v228, v21 offset:41344                         // 00000001004C: D86CA180 E4000015
	ds_read_b32 v229, v21 offset:41408                         // 000000010054: D86CA1C0 E5000015
	ds_read_b32 v232, v21 offset:43520                         // 00000001005C: D86CAA00 E8000015
	ds_read_b32 v233, v21 offset:43584                         // 000000010064: D86CAA40 E9000015
	ds_read_b32 v236, v21 offset:45696                         // 00000001006C: D86CB280 EC000015
	ds_read_b32 v237, v21 offset:45760                         // 000000010074: D86CB2C0 ED000015
	ds_read_b32 v240, v21 offset:47872                         // 00000001007C: D86CBB00 F0000015
	ds_read_b32 v241, v21 offset:47936                         // 000000010084: D86CBB40 F1000015
	ds_read_b32 v244, v21 offset:50048                         // 00000001008C: D86CC380 F4000015
	ds_read_b32 v245, v21 offset:50112                         // 000000010094: D86CC3C0 F5000015
	s_mul_i32 s60, s65, 4                                      // 00000001009C: 923C8441
	s_add_u32 s8, s60, s8                                      // 0000000100A0: 8008083C
	s_addc_u32 s9, 0, s9                                       // 0000000100A4: 82090980
	s_waitcnt lgkmcnt(0)                                       // 0000000100A8: BF8CC07F
	v_mov_b32_e32 v7, 0                                        // 0000000100AC: 7E0E0280
	s_mov_b64 exec, s[36:37]                                   // 0000000100B0: BEFE0124
	v_mov_b32_e32 v6, v40                                      // 0000000100B4: 7E0C0328
	s_mov_b64 s[60:61], 0                                      // 0000000100B8: BEBC0180
	v_readlane_b32 s82, v3, 0                                  // 0000000100BC: D2890052 00010103
	s_and_b32 s82, s82, 0xffffff                               // 0000000100C4: 8652FF52 00FFFFFF
	s_cmp_lt_u32 s82, s66                                      // 0000000100CC: BF0A4252
	s_cselect_b32 s20, s36, s60                                // 0000000100D0: 85143C24
	v_readlane_b32 s82, v3, 1                                  // 0000000100D4: D2890052 00010303
	s_and_b32 s82, s82, 0xffffff                               // 0000000100DC: 8652FF52 00FFFFFF
	s_cmp_lt_u32 s82, s66                                      // 0000000100E4: BF0A4252
	s_cselect_b32 s21, s36, s60                                // 0000000100E8: 85153C24
	s_mov_b64 exec, s[20:21]                                   // 0000000100EC: BEFE0114
	global_atomic_add_f32 v6, v152, s[8:9]                     // 0000000100F0: DD348000 00089806
	global_atomic_add_f32 v6, v156, s[8:9] offset:256          // 0000000100F8: DD348100 00089C06
	global_atomic_add_f32 v6, v160, s[8:9] offset:512          // 000000010100: DD348200 0008A006
	global_atomic_add_f32 v6, v164, s[8:9] offset:768          // 000000010108: DD348300 0008A406
	global_atomic_add_f32 v6, v168, s[8:9] offset:1024         // 000000010110: DD348400 0008A806
	global_atomic_add_f32 v6, v172, s[8:9] offset:1280         // 000000010118: DD348500 0008AC06
	global_atomic_add_f32 v6, v176, s[8:9] offset:1536         // 000000010120: DD348600 0008B006
	global_atomic_add_f32 v6, v180, s[8:9] offset:1792         // 000000010128: DD348700 0008B406
	s_mov_b64 exec, s[36:37]                                   // 000000010130: BEFE0124
	v_mov_b32_e32 v6, v41                                      // 000000010134: 7E0C0329
	s_mov_b64 s[60:61], 0                                      // 000000010138: BEBC0180
	v_readlane_b32 s82, v3, 2                                  // 00000001013C: D2890052 00010503
	s_and_b32 s82, s82, 0xffffff                               // 000000010144: 8652FF52 00FFFFFF
	s_cmp_lt_u32 s82, s66                                      // 00000001014C: BF0A4252
	s_cselect_b32 s20, s36, s60                                // 000000010150: 85143C24
	v_readlane_b32 s82, v3, 3                                  // 000000010154: D2890052 00010703
	s_and_b32 s82, s82, 0xffffff                               // 00000001015C: 8652FF52 00FFFFFF
	s_cmp_lt_u32 s82, s66                                      // 000000010164: BF0A4252
	s_cselect_b32 s21, s36, s60                                // 000000010168: 85153C24
	s_mov_b64 exec, s[20:21]                                   // 00000001016C: BEFE0114
	global_atomic_add_f32 v6, v153, s[8:9]                     // 000000010170: DD348000 00089906
	global_atomic_add_f32 v6, v157, s[8:9] offset:256          // 000000010178: DD348100 00089D06
	global_atomic_add_f32 v6, v161, s[8:9] offset:512          // 000000010180: DD348200 0008A106
	global_atomic_add_f32 v6, v165, s[8:9] offset:768          // 000000010188: DD348300 0008A506
	global_atomic_add_f32 v6, v169, s[8:9] offset:1024         // 000000010190: DD348400 0008A906
	global_atomic_add_f32 v6, v173, s[8:9] offset:1280         // 000000010198: DD348500 0008AD06
	global_atomic_add_f32 v6, v177, s[8:9] offset:1536         // 0000000101A0: DD348600 0008B106
	global_atomic_add_f32 v6, v181, s[8:9] offset:1792         // 0000000101A8: DD348700 0008B506
	s_mov_b64 exec, s[36:37]                                   // 0000000101B0: BEFE0124
	v_mov_b32_e32 v6, v42                                      // 0000000101B4: 7E0C032A
	s_mov_b64 s[60:61], 0                                      // 0000000101B8: BEBC0180
	v_readlane_b32 s82, v3, 4                                  // 0000000101BC: D2890052 00010903
	s_and_b32 s82, s82, 0xffffff                               // 0000000101C4: 8652FF52 00FFFFFF
	s_cmp_lt_u32 s82, s66                                      // 0000000101CC: BF0A4252
	s_cselect_b32 s20, s36, s60                                // 0000000101D0: 85143C24
	v_readlane_b32 s82, v3, 5                                  // 0000000101D4: D2890052 00010B03
	s_and_b32 s82, s82, 0xffffff                               // 0000000101DC: 8652FF52 00FFFFFF
	s_cmp_lt_u32 s82, s66                                      // 0000000101E4: BF0A4252
	s_cselect_b32 s21, s36, s60                                // 0000000101E8: 85153C24
	s_mov_b64 exec, s[20:21]                                   // 0000000101EC: BEFE0114
	global_atomic_add_f32 v6, v184, s[8:9]                     // 0000000101F0: DD348000 0008B806
	global_atomic_add_f32 v6, v188, s[8:9] offset:256          // 0000000101F8: DD348100 0008BC06
	global_atomic_add_f32 v6, v192, s[8:9] offset:512          // 000000010200: DD348200 0008C006
	global_atomic_add_f32 v6, v196, s[8:9] offset:768          // 000000010208: DD348300 0008C406
	global_atomic_add_f32 v6, v200, s[8:9] offset:1024         // 000000010210: DD348400 0008C806
	global_atomic_add_f32 v6, v204, s[8:9] offset:1280         // 000000010218: DD348500 0008CC06
	global_atomic_add_f32 v6, v208, s[8:9] offset:1536         // 000000010220: DD348600 0008D006
	global_atomic_add_f32 v6, v212, s[8:9] offset:1792         // 000000010228: DD348700 0008D406
	s_mov_b64 exec, s[36:37]                                   // 000000010230: BEFE0124
	v_mov_b32_e32 v6, v43                                      // 000000010234: 7E0C032B
	s_mov_b64 s[60:61], 0                                      // 000000010238: BEBC0180
	v_readlane_b32 s82, v3, 6                                  // 00000001023C: D2890052 00010D03
	s_and_b32 s82, s82, 0xffffff                               // 000000010244: 8652FF52 00FFFFFF
	s_cmp_lt_u32 s82, s66                                      // 00000001024C: BF0A4252
	s_cselect_b32 s20, s36, s60                                // 000000010250: 85143C24
	v_readlane_b32 s82, v3, 7                                  // 000000010254: D2890052 00010F03
	s_and_b32 s82, s82, 0xffffff                               // 00000001025C: 8652FF52 00FFFFFF
	s_cmp_lt_u32 s82, s66                                      // 000000010264: BF0A4252
	s_cselect_b32 s21, s36, s60                                // 000000010268: 85153C24
	s_mov_b64 exec, s[20:21]                                   // 00000001026C: BEFE0114
	global_atomic_add_f32 v6, v185, s[8:9]                     // 000000010270: DD348000 0008B906
	global_atomic_add_f32 v6, v189, s[8:9] offset:256          // 000000010278: DD348100 0008BD06
	global_atomic_add_f32 v6, v193, s[8:9] offset:512          // 000000010280: DD348200 0008C106
	global_atomic_add_f32 v6, v197, s[8:9] offset:768          // 000000010288: DD348300 0008C506
	global_atomic_add_f32 v6, v201, s[8:9] offset:1024         // 000000010290: DD348400 0008C906
	global_atomic_add_f32 v6, v205, s[8:9] offset:1280         // 000000010298: DD348500 0008CD06
	global_atomic_add_f32 v6, v209, s[8:9] offset:1536         // 0000000102A0: DD348600 0008D106
	global_atomic_add_f32 v6, v213, s[8:9] offset:1792         // 0000000102A8: DD348700 0008D506
	s_mov_b64 exec, s[36:37]                                   // 0000000102B0: BEFE0124
	v_mov_b32_e32 v6, v44                                      // 0000000102B4: 7E0C032C
	s_mov_b64 s[60:61], 0                                      // 0000000102B8: BEBC0180
	v_readlane_b32 s82, v3, 8                                  // 0000000102BC: D2890052 00011103
	s_and_b32 s82, s82, 0xffffff                               // 0000000102C4: 8652FF52 00FFFFFF
	s_cmp_lt_u32 s82, s66                                      // 0000000102CC: BF0A4252
	s_cselect_b32 s20, s36, s60                                // 0000000102D0: 85143C24
	v_readlane_b32 s82, v3, 9                                  // 0000000102D4: D2890052 00011303
	s_and_b32 s82, s82, 0xffffff                               // 0000000102DC: 8652FF52 00FFFFFF
	s_cmp_lt_u32 s82, s66                                      // 0000000102E4: BF0A4252
	s_cselect_b32 s21, s36, s60                                // 0000000102E8: 85153C24
	s_mov_b64 exec, s[20:21]                                   // 0000000102EC: BEFE0114
	global_atomic_add_f32 v6, v216, s[8:9]                     // 0000000102F0: DD348000 0008D806
	global_atomic_add_f32 v6, v220, s[8:9] offset:256          // 0000000102F8: DD348100 0008DC06
	global_atomic_add_f32 v6, v224, s[8:9] offset:512          // 000000010300: DD348200 0008E006
	global_atomic_add_f32 v6, v228, s[8:9] offset:768          // 000000010308: DD348300 0008E406
	global_atomic_add_f32 v6, v232, s[8:9] offset:1024         // 000000010310: DD348400 0008E806
	global_atomic_add_f32 v6, v236, s[8:9] offset:1280         // 000000010318: DD348500 0008EC06
	global_atomic_add_f32 v6, v240, s[8:9] offset:1536         // 000000010320: DD348600 0008F006
	global_atomic_add_f32 v6, v244, s[8:9] offset:1792         // 000000010328: DD348700 0008F406
	s_mov_b64 exec, s[36:37]                                   // 000000010330: BEFE0124
	v_mov_b32_e32 v6, v45                                      // 000000010334: 7E0C032D
	s_mov_b64 s[60:61], 0                                      // 000000010338: BEBC0180
	v_readlane_b32 s82, v3, 10                                 // 00000001033C: D2890052 00011503
	s_and_b32 s82, s82, 0xffffff                               // 000000010344: 8652FF52 00FFFFFF
	s_cmp_lt_u32 s82, s66                                      // 00000001034C: BF0A4252
	s_cselect_b32 s20, s36, s60                                // 000000010350: 85143C24
	v_readlane_b32 s82, v3, 11                                 // 000000010354: D2890052 00011703
	s_and_b32 s82, s82, 0xffffff                               // 00000001035C: 8652FF52 00FFFFFF
	s_cmp_lt_u32 s82, s66                                      // 000000010364: BF0A4252
	s_cselect_b32 s21, s36, s60                                // 000000010368: 85153C24
	s_mov_b64 exec, s[20:21]                                   // 00000001036C: BEFE0114
	global_atomic_add_f32 v6, v217, s[8:9]                     // 000000010370: DD348000 0008D906
	global_atomic_add_f32 v6, v221, s[8:9] offset:256          // 000000010378: DD348100 0008DD06
	global_atomic_add_f32 v6, v225, s[8:9] offset:512          // 000000010380: DD348200 0008E106
	global_atomic_add_f32 v6, v229, s[8:9] offset:768          // 000000010388: DD348300 0008E506
	global_atomic_add_f32 v6, v233, s[8:9] offset:1024         // 000000010390: DD348400 0008E906
	global_atomic_add_f32 v6, v237, s[8:9] offset:1280         // 000000010398: DD348500 0008ED06
	global_atomic_add_f32 v6, v241, s[8:9] offset:1536         // 0000000103A0: DD348600 0008F106
	global_atomic_add_f32 v6, v245, s[8:9] offset:1792         // 0000000103A8: DD348700 0008F506
	s_mov_b64 exec, s[36:37]                                   // 0000000103B0: BEFE0124
	ds_write_b64 v20, v[154:155]                               // 0000000103B4: D89A0000 00009A14
	ds_write_b64 v20, v[158:159] offset:17408                  // 0000000103BC: D89A4400 00009E14
	ds_write_b64 v20, v[162:163] offset:34816                  // 0000000103C4: D89A8800 0000A214
	ds_write_b64 v20, v[166:167] offset:2176                   // 0000000103CC: D89A0880 0000A614
	ds_write_b64 v20, v[170:171] offset:19584                  // 0000000103D4: D89A4C80 0000AA14
	ds_write_b64 v20, v[174:175] offset:36992                  // 0000000103DC: D89A9080 0000AE14
	ds_write_b64 v20, v[178:179] offset:4352                   // 0000000103E4: D89A1100 0000B214
	ds_write_b64 v20, v[182:183] offset:21760                  // 0000000103EC: D89A5500 0000B614
	ds_write_b64 v20, v[186:187] offset:39168                  // 0000000103F4: D89A9900 0000BA14
	ds_write_b64 v20, v[190:191] offset:6528                   // 0000000103FC: D89A1980 0000BE14
	ds_write_b64 v20, v[194:195] offset:23936                  // 000000010404: D89A5D80 0000C214
	ds_write_b64 v20, v[198:199] offset:41344                  // 00000001040C: D89AA180 0000C614
	ds_write_b64 v20, v[202:203] offset:8704                   // 000000010414: D89A2200 0000CA14
	ds_write_b64 v20, v[206:207] offset:26112                  // 00000001041C: D89A6600 0000CE14
	ds_write_b64 v20, v[210:211] offset:43520                  // 000000010424: D89AAA00 0000D214
	ds_write_b64 v20, v[214:215] offset:10880                  // 00000001042C: D89A2A80 0000D614
	ds_write_b64 v20, v[218:219] offset:28288                  // 000000010434: D89A6E80 0000DA14
	ds_write_b64 v20, v[222:223] offset:45696                  // 00000001043C: D89AB280 0000DE14
	ds_write_b64 v20, v[226:227] offset:13056                  // 000000010444: D89A3300 0000E214
	ds_write_b64 v20, v[230:231] offset:30464                  // 00000001044C: D89A7700 0000E614
	ds_write_b64 v20, v[234:235] offset:47872                  // 000000010454: D89ABB00 0000EA14
	ds_write_b64 v20, v[238:239] offset:15232                  // 00000001045C: D89A3B80 0000EE14
	ds_write_b64 v20, v[242:243] offset:32640                  // 000000010464: D89A7F80 0000F214
	ds_write_b64 v20, v[246:247] offset:50048                  // 00000001046C: D89AC380 0000F614
	s_waitcnt lgkmcnt(0)                                       // 000000010474: BF8CC07F
	s_barrier                                                  // 000000010478: BF8A0000
	ds_read_b32 v154, v21                                      // 00000001047C: D86C0000 9A000015
	ds_read_b32 v155, v21 offset:64                            // 000000010484: D86C0040 9B000015
	ds_read_b32 v158, v21 offset:2176                          // 00000001048C: D86C0880 9E000015
	ds_read_b32 v159, v21 offset:2240                          // 000000010494: D86C08C0 9F000015
	ds_read_b32 v162, v21 offset:4352                          // 00000001049C: D86C1100 A2000015
	ds_read_b32 v163, v21 offset:4416                          // 0000000104A4: D86C1140 A3000015
	ds_read_b32 v166, v21 offset:6528                          // 0000000104AC: D86C1980 A6000015
	ds_read_b32 v167, v21 offset:6592                          // 0000000104B4: D86C19C0 A7000015
	ds_read_b32 v170, v21 offset:8704                          // 0000000104BC: D86C2200 AA000015
	ds_read_b32 v171, v21 offset:8768                          // 0000000104C4: D86C2240 AB000015
	ds_read_b32 v174, v21 offset:10880                         // 0000000104CC: D86C2A80 AE000015
	ds_read_b32 v175, v21 offset:10944                         // 0000000104D4: D86C2AC0 AF000015
	ds_read_b32 v178, v21 offset:13056                         // 0000000104DC: D86C3300 B2000015
	ds_read_b32 v179, v21 offset:13120                         // 0000000104E4: D86C3340 B3000015
	ds_read_b32 v182, v21 offset:15232                         // 0000000104EC: D86C3B80 B6000015
	ds_read_b32 v183, v21 offset:15296                         // 0000000104F4: D86C3BC0 B7000015
	ds_read_b32 v186, v21 offset:17408                         // 0000000104FC: D86C4400 BA000015
	ds_read_b32 v187, v21 offset:17472                         // 000000010504: D86C4440 BB000015
	ds_read_b32 v190, v21 offset:19584                         // 00000001050C: D86C4C80 BE000015
	ds_read_b32 v191, v21 offset:19648                         // 000000010514: D86C4CC0 BF000015
	ds_read_b32 v194, v21 offset:21760                         // 00000001051C: D86C5500 C2000015
	ds_read_b32 v195, v21 offset:21824                         // 000000010524: D86C5540 C3000015
	ds_read_b32 v198, v21 offset:23936                         // 00000001052C: D86C5D80 C6000015
	ds_read_b32 v199, v21 offset:24000                         // 000000010534: D86C5DC0 C7000015
	ds_read_b32 v202, v21 offset:26112                         // 00000001053C: D86C6600 CA000015
	ds_read_b32 v203, v21 offset:26176                         // 000000010544: D86C6640 CB000015
	ds_read_b32 v206, v21 offset:28288                         // 00000001054C: D86C6E80 CE000015
	ds_read_b32 v207, v21 offset:28352                         // 000000010554: D86C6EC0 CF000015
	ds_read_b32 v210, v21 offset:30464                         // 00000001055C: D86C7700 D2000015
	ds_read_b32 v211, v21 offset:30528                         // 000000010564: D86C7740 D3000015
	ds_read_b32 v214, v21 offset:32640                         // 00000001056C: D86C7F80 D6000015
	ds_read_b32 v215, v21 offset:32704                         // 000000010574: D86C7FC0 D7000015
	ds_read_b32 v218, v21 offset:34816                         // 00000001057C: D86C8800 DA000015
	ds_read_b32 v219, v21 offset:34880                         // 000000010584: D86C8840 DB000015
	ds_read_b32 v222, v21 offset:36992                         // 00000001058C: D86C9080 DE000015
	ds_read_b32 v223, v21 offset:37056                         // 000000010594: D86C90C0 DF000015
	ds_read_b32 v226, v21 offset:39168                         // 00000001059C: D86C9900 E2000015
	ds_read_b32 v227, v21 offset:39232                         // 0000000105A4: D86C9940 E3000015
	ds_read_b32 v230, v21 offset:41344                         // 0000000105AC: D86CA180 E6000015
	ds_read_b32 v231, v21 offset:41408                         // 0000000105B4: D86CA1C0 E7000015
	ds_read_b32 v234, v21 offset:43520                         // 0000000105BC: D86CAA00 EA000015
	ds_read_b32 v235, v21 offset:43584                         // 0000000105C4: D86CAA40 EB000015
	ds_read_b32 v238, v21 offset:45696                         // 0000000105CC: D86CB280 EE000015
	ds_read_b32 v239, v21 offset:45760                         // 0000000105D4: D86CB2C0 EF000015
	ds_read_b32 v242, v21 offset:47872                         // 0000000105DC: D86CBB00 F2000015
	ds_read_b32 v243, v21 offset:47936                         // 0000000105E4: D86CBB40 F3000015
	ds_read_b32 v246, v21 offset:50048                         // 0000000105EC: D86CC380 F6000015
	ds_read_b32 v247, v21 offset:50112                         // 0000000105F4: D86CC3C0 F7000015
	s_waitcnt lgkmcnt(0)                                       // 0000000105FC: BF8CC07F
	v_mov_b32_e32 v7, 0                                        // 000000010600: 7E0E0280
	s_mov_b64 exec, s[36:37]                                   // 000000010604: BEFE0124
	v_mov_b32_e32 v6, v40                                      // 000000010608: 7E0C0328
	s_mov_b64 s[60:61], 0                                      // 00000001060C: BEBC0180
	v_readlane_b32 s82, v3, 0                                  // 000000010610: D2890052 00010103
	s_and_b32 s82, s82, 0xffffff                               // 000000010618: 8652FF52 00FFFFFF
	s_cmp_lt_u32 s82, s66                                      // 000000010620: BF0A4252
	s_cselect_b32 s20, s36, s60                                // 000000010624: 85143C24
	v_readlane_b32 s82, v3, 1                                  // 000000010628: D2890052 00010303
	s_and_b32 s82, s82, 0xffffff                               // 000000010630: 8652FF52 00FFFFFF
	s_cmp_lt_u32 s82, s66                                      // 000000010638: BF0A4252
	s_cselect_b32 s21, s36, s60                                // 00000001063C: 85153C24
	s_mov_b64 exec, s[20:21]                                   // 000000010640: BEFE0114
	global_atomic_add_f32 v6, v154, s[8:9] offset:8            // 000000010644: DD348008 00089A06
	global_atomic_add_f32 v6, v158, s[8:9] offset:264          // 00000001064C: DD348108 00089E06
	global_atomic_add_f32 v6, v162, s[8:9] offset:520          // 000000010654: DD348208 0008A206
	global_atomic_add_f32 v6, v166, s[8:9] offset:776          // 00000001065C: DD348308 0008A606
	global_atomic_add_f32 v6, v170, s[8:9] offset:1032         // 000000010664: DD348408 0008AA06
	global_atomic_add_f32 v6, v174, s[8:9] offset:1288         // 00000001066C: DD348508 0008AE06
	global_atomic_add_f32 v6, v178, s[8:9] offset:1544         // 000000010674: DD348608 0008B206
	global_atomic_add_f32 v6, v182, s[8:9] offset:1800         // 00000001067C: DD348708 0008B606
	s_mov_b64 exec, s[36:37]                                   // 000000010684: BEFE0124
	v_mov_b32_e32 v6, v41                                      // 000000010688: 7E0C0329
	s_mov_b64 s[60:61], 0                                      // 00000001068C: BEBC0180
	v_readlane_b32 s82, v3, 2                                  // 000000010690: D2890052 00010503
	s_and_b32 s82, s82, 0xffffff                               // 000000010698: 8652FF52 00FFFFFF
	s_cmp_lt_u32 s82, s66                                      // 0000000106A0: BF0A4252
	s_cselect_b32 s20, s36, s60                                // 0000000106A4: 85143C24
	v_readlane_b32 s82, v3, 3                                  // 0000000106A8: D2890052 00010703
	s_and_b32 s82, s82, 0xffffff                               // 0000000106B0: 8652FF52 00FFFFFF
	s_cmp_lt_u32 s82, s66                                      // 0000000106B8: BF0A4252
	s_cselect_b32 s21, s36, s60                                // 0000000106BC: 85153C24
	s_mov_b64 exec, s[20:21]                                   // 0000000106C0: BEFE0114
	global_atomic_add_f32 v6, v155, s[8:9] offset:8            // 0000000106C4: DD348008 00089B06
	global_atomic_add_f32 v6, v159, s[8:9] offset:264          // 0000000106CC: DD348108 00089F06
	global_atomic_add_f32 v6, v163, s[8:9] offset:520          // 0000000106D4: DD348208 0008A306
	global_atomic_add_f32 v6, v167, s[8:9] offset:776          // 0000000106DC: DD348308 0008A706
	global_atomic_add_f32 v6, v171, s[8:9] offset:1032         // 0000000106E4: DD348408 0008AB06
	global_atomic_add_f32 v6, v175, s[8:9] offset:1288         // 0000000106EC: DD348508 0008AF06
	global_atomic_add_f32 v6, v179, s[8:9] offset:1544         // 0000000106F4: DD348608 0008B306
	global_atomic_add_f32 v6, v183, s[8:9] offset:1800         // 0000000106FC: DD348708 0008B706
	s_mov_b64 exec, s[36:37]                                   // 000000010704: BEFE0124
	v_mov_b32_e32 v6, v42                                      // 000000010708: 7E0C032A
	s_mov_b64 s[60:61], 0                                      // 00000001070C: BEBC0180
	v_readlane_b32 s82, v3, 4                                  // 000000010710: D2890052 00010903
	s_and_b32 s82, s82, 0xffffff                               // 000000010718: 8652FF52 00FFFFFF
	s_cmp_lt_u32 s82, s66                                      // 000000010720: BF0A4252
	s_cselect_b32 s20, s36, s60                                // 000000010724: 85143C24
	v_readlane_b32 s82, v3, 5                                  // 000000010728: D2890052 00010B03
	s_and_b32 s82, s82, 0xffffff                               // 000000010730: 8652FF52 00FFFFFF
	s_cmp_lt_u32 s82, s66                                      // 000000010738: BF0A4252
	s_cselect_b32 s21, s36, s60                                // 00000001073C: 85153C24
	s_mov_b64 exec, s[20:21]                                   // 000000010740: BEFE0114
	global_atomic_add_f32 v6, v186, s[8:9] offset:8            // 000000010744: DD348008 0008BA06
	global_atomic_add_f32 v6, v190, s[8:9] offset:264          // 00000001074C: DD348108 0008BE06
	global_atomic_add_f32 v6, v194, s[8:9] offset:520          // 000000010754: DD348208 0008C206
	global_atomic_add_f32 v6, v198, s[8:9] offset:776          // 00000001075C: DD348308 0008C606
	global_atomic_add_f32 v6, v202, s[8:9] offset:1032         // 000000010764: DD348408 0008CA06
	global_atomic_add_f32 v6, v206, s[8:9] offset:1288         // 00000001076C: DD348508 0008CE06
	global_atomic_add_f32 v6, v210, s[8:9] offset:1544         // 000000010774: DD348608 0008D206
	global_atomic_add_f32 v6, v214, s[8:9] offset:1800         // 00000001077C: DD348708 0008D606
	s_mov_b64 exec, s[36:37]                                   // 000000010784: BEFE0124
	v_mov_b32_e32 v6, v43                                      // 000000010788: 7E0C032B
	s_mov_b64 s[60:61], 0                                      // 00000001078C: BEBC0180
	v_readlane_b32 s82, v3, 6                                  // 000000010790: D2890052 00010D03
	s_and_b32 s82, s82, 0xffffff                               // 000000010798: 8652FF52 00FFFFFF
	s_cmp_lt_u32 s82, s66                                      // 0000000107A0: BF0A4252
	s_cselect_b32 s20, s36, s60                                // 0000000107A4: 85143C24
	v_readlane_b32 s82, v3, 7                                  // 0000000107A8: D2890052 00010F03
	s_and_b32 s82, s82, 0xffffff                               // 0000000107B0: 8652FF52 00FFFFFF
	s_cmp_lt_u32 s82, s66                                      // 0000000107B8: BF0A4252
	s_cselect_b32 s21, s36, s60                                // 0000000107BC: 85153C24
	s_mov_b64 exec, s[20:21]                                   // 0000000107C0: BEFE0114
	global_atomic_add_f32 v6, v187, s[8:9] offset:8            // 0000000107C4: DD348008 0008BB06
	global_atomic_add_f32 v6, v191, s[8:9] offset:264          // 0000000107CC: DD348108 0008BF06
	global_atomic_add_f32 v6, v195, s[8:9] offset:520          // 0000000107D4: DD348208 0008C306
	global_atomic_add_f32 v6, v199, s[8:9] offset:776          // 0000000107DC: DD348308 0008C706
	global_atomic_add_f32 v6, v203, s[8:9] offset:1032         // 0000000107E4: DD348408 0008CB06
	global_atomic_add_f32 v6, v207, s[8:9] offset:1288         // 0000000107EC: DD348508 0008CF06
	global_atomic_add_f32 v6, v211, s[8:9] offset:1544         // 0000000107F4: DD348608 0008D306
	global_atomic_add_f32 v6, v215, s[8:9] offset:1800         // 0000000107FC: DD348708 0008D706
	s_mov_b64 exec, s[36:37]                                   // 000000010804: BEFE0124
	v_mov_b32_e32 v6, v44                                      // 000000010808: 7E0C032C
	s_mov_b64 s[60:61], 0                                      // 00000001080C: BEBC0180
	v_readlane_b32 s82, v3, 8                                  // 000000010810: D2890052 00011103
	s_and_b32 s82, s82, 0xffffff                               // 000000010818: 8652FF52 00FFFFFF
	s_cmp_lt_u32 s82, s66                                      // 000000010820: BF0A4252
	s_cselect_b32 s20, s36, s60                                // 000000010824: 85143C24
	v_readlane_b32 s82, v3, 9                                  // 000000010828: D2890052 00011303
	s_and_b32 s82, s82, 0xffffff                               // 000000010830: 8652FF52 00FFFFFF
	s_cmp_lt_u32 s82, s66                                      // 000000010838: BF0A4252
	s_cselect_b32 s21, s36, s60                                // 00000001083C: 85153C24
	s_mov_b64 exec, s[20:21]                                   // 000000010840: BEFE0114
	global_atomic_add_f32 v6, v218, s[8:9] offset:8            // 000000010844: DD348008 0008DA06
	global_atomic_add_f32 v6, v222, s[8:9] offset:264          // 00000001084C: DD348108 0008DE06
	global_atomic_add_f32 v6, v226, s[8:9] offset:520          // 000000010854: DD348208 0008E206
	global_atomic_add_f32 v6, v230, s[8:9] offset:776          // 00000001085C: DD348308 0008E606
	global_atomic_add_f32 v6, v234, s[8:9] offset:1032         // 000000010864: DD348408 0008EA06
	global_atomic_add_f32 v6, v238, s[8:9] offset:1288         // 00000001086C: DD348508 0008EE06
	global_atomic_add_f32 v6, v242, s[8:9] offset:1544         // 000000010874: DD348608 0008F206
	global_atomic_add_f32 v6, v246, s[8:9] offset:1800         // 00000001087C: DD348708 0008F606
	s_mov_b64 exec, s[36:37]                                   // 000000010884: BEFE0124
	v_mov_b32_e32 v6, v45                                      // 000000010888: 7E0C032D
	s_mov_b64 s[60:61], 0                                      // 00000001088C: BEBC0180
	v_readlane_b32 s82, v3, 10                                 // 000000010890: D2890052 00011503
	s_and_b32 s82, s82, 0xffffff                               // 000000010898: 8652FF52 00FFFFFF
	s_cmp_lt_u32 s82, s66                                      // 0000000108A0: BF0A4252
	s_cselect_b32 s20, s36, s60                                // 0000000108A4: 85143C24
	v_readlane_b32 s82, v3, 11                                 // 0000000108A8: D2890052 00011703
	s_and_b32 s82, s82, 0xffffff                               // 0000000108B0: 8652FF52 00FFFFFF
	s_cmp_lt_u32 s82, s66                                      // 0000000108B8: BF0A4252
	s_cselect_b32 s21, s36, s60                                // 0000000108BC: 85153C24
	s_mov_b64 exec, s[20:21]                                   // 0000000108C0: BEFE0114
	global_atomic_add_f32 v6, v219, s[8:9] offset:8            // 0000000108C4: DD348008 0008DB06
	global_atomic_add_f32 v6, v223, s[8:9] offset:264          // 0000000108CC: DD348108 0008DF06
	global_atomic_add_f32 v6, v227, s[8:9] offset:520          // 0000000108D4: DD348208 0008E306
	global_atomic_add_f32 v6, v231, s[8:9] offset:776          // 0000000108DC: DD348308 0008E706
	global_atomic_add_f32 v6, v235, s[8:9] offset:1032         // 0000000108E4: DD348408 0008EB06
	global_atomic_add_f32 v6, v239, s[8:9] offset:1288         // 0000000108EC: DD348508 0008EF06
	global_atomic_add_f32 v6, v243, s[8:9] offset:1544         // 0000000108F4: DD348608 0008F306
	global_atomic_add_f32 v6, v247, s[8:9] offset:1800         // 0000000108FC: DD348708 0008F706
	s_mov_b64 exec, s[36:37]                                   // 000000010904: BEFE0124
	s_branch label_37C6                                        // 000000010908: BF820000

000000000001090c <label_37C6>:
	s_waitcnt vmcnt(0) expcnt(0) lgkmcnt(0)                    // 00000001090C: BF8C0000
	s_endpgm                                                   // 000000010910: BF810000
